;; amdgpu-corpus repo=ROCm/rocFFT kind=compiled arch=gfx906 opt=O3
	.text
	.amdgcn_target "amdgcn-amd-amdhsa--gfx906"
	.amdhsa_code_object_version 6
	.protected	bluestein_single_fwd_len3840_dim1_dp_op_CI_CI ; -- Begin function bluestein_single_fwd_len3840_dim1_dp_op_CI_CI
	.globl	bluestein_single_fwd_len3840_dim1_dp_op_CI_CI
	.p2align	8
	.type	bluestein_single_fwd_len3840_dim1_dp_op_CI_CI,@function
bluestein_single_fwd_len3840_dim1_dp_op_CI_CI: ; @bluestein_single_fwd_len3840_dim1_dp_op_CI_CI
; %bb.0:
	s_load_dwordx4 s[16:19], s[4:5], 0x28
	s_mov_b64 s[38:39], s[2:3]
	s_mov_b64 s[36:37], s[0:1]
	s_add_u32 s36, s36, s7
	v_mov_b32_e32 v253, v0
	s_waitcnt lgkmcnt(0)
	v_mov_b32_e32 v0, s16
	v_mov_b32_e32 v1, s17
	s_mov_b32 s7, 0
	v_cmp_lt_u64_e32 vcc, s[6:7], v[0:1]
	s_addc_u32 s37, s37, 0
	s_and_saveexec_b64 s[0:1], vcc
	s_cbranch_execz .LBB0_2
; %bb.1:
	s_load_dwordx4 s[8:11], s[4:5], 0x18
	v_mov_b32_e32 v2, s6
	v_mov_b32_e32 v4, v2
	;; [unrolled: 1-line block ×4, first 2 shown]
	s_waitcnt lgkmcnt(0)
	s_load_dwordx4 s[12:15], s[8:9], 0x0
	buffer_store_dword v4, off, s[36:39], 0 offset:384 ; 4-byte Folded Spill
	s_nop 0
	buffer_store_dword v5, off, s[36:39], 0 offset:388 ; 4-byte Folded Spill
	v_or_b32_e32 v49, 0x180, v253
	v_lshlrev_b32_e32 v96, 4, v253
	v_or_b32_e32 v75, 0x300, v253
	s_waitcnt lgkmcnt(0)
	v_mad_u64_u32 v[0:1], s[0:1], s14, v2, 0
	v_mad_u64_u32 v[2:3], s[0:1], s12, v253, 0
	s_load_dwordx4 s[0:3], s[4:5], 0x0
	s_mul_i32 s8, s13, 0x1800
	s_mul_hi_u32 s9, s12, 0x1800
	v_or_b32_e32 v69, 0x480, v253
	v_or_b32_e32 v68, 0x600, v253
	s_waitcnt lgkmcnt(0)
	global_load_dwordx4 v[141:144], v96, s[0:1]
	v_or_b32_e32 v76, 0x200, v253
	v_or_b32_e32 v43, 0xd800, v96
	global_load_dwordx4 v[109:112], v43, s[0:1]
	v_or_b32_e32 v62, 0x380, v253
	v_or_b32_e32 v71, 0x500, v253
	;; [unrolled: 1-line block ×3, first 2 shown]
	v_mov_b32_e32 v65, 0xffff3000
	v_or_b32_e32 v74, 0x400, v253
	v_or_b32_e32 v73, 0x580, v253
	;; [unrolled: 1-line block ×3, first 2 shown]
	s_mov_b32 s19, 0xbfee6f0e
	s_mov_b32 s17, 0xbfe2cf23
	;; [unrolled: 1-line block ×10, first 2 shown]
	s_movk_i32 s28, 0x50
	s_mov_b32 s31, 0xbfebb67a
	s_movk_i32 s33, 0xff90
	v_mad_u64_u32 v[4:5], s[6:7], s15, v4, v[1:2]
	v_mad_u64_u32 v[5:6], s[6:7], s13, v253, v[3:4]
	v_mov_b32_e32 v1, v4
	v_lshlrev_b64 v[0:1], 4, v[0:1]
	v_mov_b32_e32 v3, v5
	v_add_co_u32_e32 v4, vcc, s18, v0
	v_addc_co_u32_e32 v6, vcc, v7, v1, vcc
	v_lshlrev_b64 v[0:1], 4, v[2:3]
	s_add_u32 s6, s0, 0xf000
	v_add_co_u32_e32 v5, vcc, v4, v0
	s_addc_u32 s7, s1, 0
	v_addc_co_u32_e32 v6, vcc, v6, v1, vcc
	s_add_i32 s8, s9, s8
	s_mul_i32 s9, s12, 0x1800
	v_mov_b32_e32 v0, s8
	v_add_co_u32_e32 v9, vcc, s9, v5
	v_addc_co_u32_e32 v10, vcc, v6, v0, vcc
	v_lshlrev_b32_e32 v0, 4, v49
	buffer_store_dword v0, off, s[36:39], 0 offset:524 ; 4-byte Folded Spill
	global_load_dwordx4 v[97:100], v0, s[0:1]
	v_mov_b32_e32 v0, s8
	v_add_co_u32_e32 v13, vcc, s9, v9
	v_addc_co_u32_e32 v14, vcc, v10, v0, vcc
	v_lshlrev_b32_e32 v0, 4, v75
	global_load_dwordx4 v[121:124], v0, s[0:1]
	v_add_co_u32_e32 v17, vcc, s9, v13
	buffer_store_dword v0, off, s[36:39], 0 offset:496 ; 4-byte Folded Spill
	v_mov_b32_e32 v0, s8
	v_addc_co_u32_e32 v18, vcc, v14, v0, vcc
	v_lshlrev_b32_e32 v0, 4, v69
	buffer_store_dword v0, off, s[36:39], 0 offset:508 ; 4-byte Folded Spill
	global_load_dwordx4 v[101:104], v0, s[0:1]
	v_mov_b32_e32 v0, s8
	v_add_co_u32_e32 v21, vcc, s9, v17
	v_addc_co_u32_e32 v22, vcc, v18, v0, vcc
	v_lshlrev_b32_e32 v0, 4, v68
	global_load_dwordx4 v[125:128], v0, s[0:1]
	v_add_co_u32_e32 v25, vcc, s9, v21
	buffer_store_dword v0, off, s[36:39], 0 offset:492 ; 4-byte Folded Spill
	v_mov_b32_e32 v0, s8
	v_addc_co_u32_e32 v26, vcc, v22, v0, vcc
	v_or_b32_e32 v0, 0x7800, v96
	global_load_dwordx4 v[89:92], v0, s[0:1]
	v_mov_b32_e32 v0, s8
	v_add_co_u32_e32 v29, vcc, s9, v25
	v_addc_co_u32_e32 v30, vcc, v26, v0, vcc
	v_or_b32_e32 v0, 0x9000, v96
	global_load_dwordx4 v[117:120], v0, s[0:1]
	v_mov_b32_e32 v0, s8
	v_add_co_u32_e32 v33, vcc, s9, v29
	v_addc_co_u32_e32 v34, vcc, v30, v0, vcc
	v_or_b32_e32 v0, 0xa800, v96
	global_load_dwordx4 v[85:88], v0, s[0:1]
	v_mov_b32_e32 v0, s8
	v_add_co_u32_e32 v37, vcc, s9, v33
	v_addc_co_u32_e32 v38, vcc, v34, v0, vcc
	v_or_b32_e32 v0, 0xc000, v96
	global_load_dwordx4 v[105:108], v0, s[0:1]
	v_mov_b32_e32 v0, s8
	v_add_co_u32_e32 v41, vcc, s9, v37
	v_addc_co_u32_e32 v42, vcc, v38, v0, vcc
	v_mov_b32_e32 v0, 0xffff3000
	v_mad_u64_u32 v[45:46], s[14:15], s12, v0, v[41:42]
	s_mul_i32 s13, s13, 0xffff3000
	s_sub_i32 s13, s13, s12
	v_add_u32_e32 v46, s13, v46
	v_mov_b32_e32 v0, s8
	v_add_co_u32_e32 v50, vcc, s9, v45
	v_addc_co_u32_e32 v51, vcc, v46, v0, vcc
	v_lshlrev_b32_e32 v0, 4, v76
	global_load_dwordx4 v[1:4], v[5:6], off
	s_nop 0
	global_load_dwordx4 v[5:8], v[9:10], off
	s_nop 0
	;; [unrolled: 2-line block ×10, first 2 shown]
	global_load_dwordx4 v[41:44], v[45:46], off
	global_load_dwordx4 v[113:116], v96, s[0:1] offset:2048
	global_load_dwordx4 v[129:132], v0, s[0:1]
	s_nop 0
	global_load_dwordx4 v[45:48], v[50:51], off
	v_add_co_u32_e32 v50, vcc, s9, v50
	buffer_store_dword v0, off, s[36:39], 0 offset:488 ; 4-byte Folded Spill
	v_mov_b32_e32 v0, s8
	v_addc_co_u32_e32 v51, vcc, v51, v0, vcc
	v_lshlrev_b32_e32 v0, 4, v62
	global_load_dwordx4 v[133:136], v0, s[0:1]
	global_load_dwordx4 v[77:80], v[50:51], off
	v_add_co_u32_e32 v50, vcc, s9, v50
	buffer_store_dword v0, off, s[36:39], 0 offset:500 ; 4-byte Folded Spill
	v_mov_b32_e32 v0, s8
	v_addc_co_u32_e32 v51, vcc, v51, v0, vcc
	global_load_dwordx4 v[81:84], v[50:51], off
	v_lshlrev_b32_e32 v0, 4, v71
	buffer_store_dword v0, off, s[36:39], 0 offset:504 ; 4-byte Folded Spill
	global_load_dwordx4 v[137:140], v0, s[0:1]
	s_waitcnt vmcnt(34)
	buffer_store_dword v141, off, s[36:39], 0 offset:472 ; 4-byte Folded Spill
	s_nop 0
	buffer_store_dword v142, off, s[36:39], 0 offset:476 ; 4-byte Folded Spill
	buffer_store_dword v143, off, s[36:39], 0 offset:480 ; 4-byte Folded Spill
	buffer_store_dword v144, off, s[36:39], 0 offset:484 ; 4-byte Folded Spill
	s_waitcnt vmcnt(35)
	buffer_store_dword v97, off, s[36:39], 0 offset:192 ; 4-byte Folded Spill
	s_nop 0
	buffer_store_dword v98, off, s[36:39], 0 offset:196 ; 4-byte Folded Spill
	buffer_store_dword v99, off, s[36:39], 0 offset:200 ; 4-byte Folded Spill
	buffer_store_dword v100, off, s[36:39], 0 offset:204 ; 4-byte Folded Spill
	;; [unrolled: 6-line block ×5, first 2 shown]
	v_mov_b32_e32 v0, s8
	s_waitcnt vmcnt(40)
	v_mul_f64 v[52:53], v[3:4], v[143:144]
	v_mul_f64 v[54:55], v[1:2], v[143:144]
	s_waitcnt vmcnt(39)
	v_mul_f64 v[56:57], v[7:8], v[99:100]
	v_mul_f64 v[58:59], v[5:6], v[99:100]
	;; [unrolled: 3-line block ×3, first 2 shown]
	v_fma_f64 v[1:2], v[1:2], v[141:142], v[52:53]
	v_fma_f64 v[3:4], v[3:4], v[141:142], -v[54:55]
	v_fma_f64 v[5:6], v[5:6], v[97:98], v[56:57]
	v_fma_f64 v[7:8], v[7:8], v[97:98], -v[58:59]
	;; [unrolled: 2-line block ×3, first 2 shown]
	ds_write_b128 v96, v[1:4]
	ds_write_b128 v96, v[5:8] offset:6144
	ds_write_b128 v96, v[9:12] offset:12288
	buffer_store_dword v89, off, s[36:39], 0 offset:128 ; 4-byte Folded Spill
	s_nop 0
	buffer_store_dword v90, off, s[36:39], 0 offset:132 ; 4-byte Folded Spill
	buffer_store_dword v91, off, s[36:39], 0 offset:136 ; 4-byte Folded Spill
	buffer_store_dword v92, off, s[36:39], 0 offset:140 ; 4-byte Folded Spill
	buffer_store_dword v117, off, s[36:39], 0 offset:112 ; 4-byte Folded Spill
	s_nop 0
	buffer_store_dword v118, off, s[36:39], 0 offset:116 ; 4-byte Folded Spill
	buffer_store_dword v119, off, s[36:39], 0 offset:120 ; 4-byte Folded Spill
	buffer_store_dword v120, off, s[36:39], 0 offset:124 ; 4-byte Folded Spill
	;; [unrolled: 5-line block ×4, first 2 shown]
	s_waitcnt vmcnt(53)
	v_mul_f64 v[52:53], v[15:16], v[103:104]
	v_mul_f64 v[54:55], v[13:14], v[103:104]
	s_waitcnt vmcnt(52)
	v_mul_f64 v[56:57], v[19:20], v[127:128]
	v_mul_f64 v[58:59], v[17:18], v[127:128]
	buffer_store_dword v109, off, s[36:39], 0 offset:32 ; 4-byte Folded Spill
	s_nop 0
	buffer_store_dword v110, off, s[36:39], 0 offset:36 ; 4-byte Folded Spill
	buffer_store_dword v111, off, s[36:39], 0 offset:40 ; 4-byte Folded Spill
	;; [unrolled: 1-line block ×3, first 2 shown]
	v_or_b32_e32 v61, 0xe000, v96
	v_fma_f64 v[1:2], v[13:14], v[101:102], v[52:53]
	v_fma_f64 v[3:4], v[15:16], v[101:102], -v[54:55]
	v_fma_f64 v[5:6], v[17:18], v[125:126], v[56:57]
	v_fma_f64 v[7:8], v[19:20], v[125:126], -v[58:59]
	s_waitcnt vmcnt(55)
	v_mul_f64 v[9:10], v[23:24], v[91:92]
	v_mul_f64 v[11:12], v[21:22], v[91:92]
	s_waitcnt vmcnt(54)
	v_mul_f64 v[13:14], v[27:28], v[119:120]
	v_mul_f64 v[15:16], v[25:26], v[119:120]
	;; [unrolled: 3-line block ×4, first 2 shown]
	v_fma_f64 v[9:10], v[21:22], v[89:90], v[9:10]
	v_fma_f64 v[11:12], v[23:24], v[89:90], -v[11:12]
	v_fma_f64 v[13:14], v[25:26], v[117:118], v[13:14]
	v_fma_f64 v[15:16], v[27:28], v[117:118], -v[15:16]
	;; [unrolled: 2-line block ×4, first 2 shown]
	ds_write_b128 v96, v[1:4] offset:18432
	ds_write_b128 v96, v[5:8] offset:24576
	;; [unrolled: 1-line block ×6, first 2 shown]
	s_waitcnt vmcnt(47)
	v_mul_f64 v[9:10], v[47:48], v[131:132]
	v_mul_f64 v[11:12], v[45:46], v[131:132]
	buffer_store_dword v129, off, s[36:39], 0 offset:48 ; 4-byte Folded Spill
	s_nop 0
	buffer_store_dword v130, off, s[36:39], 0 offset:52 ; 4-byte Folded Spill
	buffer_store_dword v131, off, s[36:39], 0 offset:56 ; 4-byte Folded Spill
	;; [unrolled: 1-line block ×3, first 2 shown]
	s_waitcnt vmcnt(48)
	v_mul_f64 v[21:22], v[79:80], v[135:136]
	v_mul_f64 v[23:24], v[77:78], v[135:136]
	buffer_store_dword v133, off, s[36:39], 0 offset:16 ; 4-byte Folded Spill
	s_nop 0
	buffer_store_dword v134, off, s[36:39], 0 offset:20 ; 4-byte Folded Spill
	buffer_store_dword v135, off, s[36:39], 0 offset:24 ; 4-byte Folded Spill
	;; [unrolled: 1-line block ×3, first 2 shown]
	s_waitcnt vmcnt(48)
	buffer_store_dword v137, off, s[36:39], 0 ; 4-byte Folded Spill
	s_nop 0
	buffer_store_dword v138, off, s[36:39], 0 offset:4 ; 4-byte Folded Spill
	buffer_store_dword v139, off, s[36:39], 0 offset:8 ; 4-byte Folded Spill
	;; [unrolled: 1-line block ×3, first 2 shown]
	v_mul_f64 v[5:6], v[43:44], v[115:116]
	v_mul_f64 v[7:8], v[41:42], v[115:116]
	buffer_store_dword v113, off, s[36:39], 0 offset:64 ; 4-byte Folded Spill
	s_nop 0
	buffer_store_dword v114, off, s[36:39], 0 offset:68 ; 4-byte Folded Spill
	buffer_store_dword v115, off, s[36:39], 0 offset:72 ; 4-byte Folded Spill
	;; [unrolled: 1-line block ×3, first 2 shown]
	v_mul_f64 v[25:26], v[39:40], v[111:112]
	v_mul_f64 v[27:28], v[37:38], v[111:112]
	v_fma_f64 v[1:2], v[37:38], v[109:110], v[25:26]
	v_fma_f64 v[3:4], v[39:40], v[109:110], -v[27:28]
	v_fma_f64 v[13:14], v[45:46], v[129:130], v[9:10]
	v_fma_f64 v[15:16], v[47:48], v[129:130], -v[11:12]
	v_fma_f64 v[9:10], v[77:78], v[133:134], v[21:22]
	v_mul_f64 v[25:26], v[83:84], v[139:140]
	v_mul_f64 v[27:28], v[81:82], v[139:140]
	v_fma_f64 v[11:12], v[79:80], v[133:134], -v[23:24]
	v_fma_f64 v[17:18], v[41:42], v[113:114], v[5:6]
	v_fma_f64 v[19:20], v[43:44], v[113:114], -v[7:8]
	v_or_b32_e32 v77, 0x280, v253
	v_fma_f64 v[5:6], v[81:82], v[137:138], v[25:26]
	v_add_co_u32_e32 v25, vcc, s9, v50
	v_addc_co_u32_e32 v26, vcc, v51, v0, vcc
	v_lshlrev_b32_e32 v0, 4, v70
	buffer_store_dword v0, off, s[36:39], 0 offset:512 ; 4-byte Folded Spill
	global_load_dwordx4 v[99:102], v0, s[0:1]
	v_mov_b32_e32 v0, s8
	v_add_co_u32_e32 v29, vcc, s9, v25
	v_addc_co_u32_e32 v30, vcc, v26, v0, vcc
	v_or_b32_e32 v0, 0x8000, v96
	global_load_dwordx4 v[103:106], v0, s[0:1]
	v_mov_b32_e32 v0, s8
	v_add_co_u32_e32 v33, vcc, s9, v29
	v_addc_co_u32_e32 v34, vcc, v30, v0, vcc
	v_or_b32_e32 v0, 0x9800, v96
	;; [unrolled: 5-line block ×4, first 2 shown]
	global_load_dwordx4 v[129:132], v0, s[0:1]
	v_fma_f64 v[7:8], v[83:84], v[137:138], -v[27:28]
	global_load_dwordx4 v[21:24], v[25:26], off
	v_mov_b32_e32 v0, s8
	global_load_dwordx4 v[25:28], v[29:30], off
	v_or_b32_e32 v50, 0x100, v253
	global_load_dwordx4 v[29:32], v[33:34], off
	s_nop 0
	global_load_dwordx4 v[33:36], v[37:38], off
	s_nop 0
	global_load_dwordx4 v[37:40], v[41:42], off
	v_add_co_u32_e32 v41, vcc, s9, v41
	v_addc_co_u32_e32 v42, vcc, v42, v0, vcc
	v_mad_u64_u32 v[51:52], s[14:15], s12, v65, v[41:42]
	v_lshlrev_b32_e32 v0, 4, v50
	buffer_store_dword v0, off, s[36:39], 0 offset:516 ; 4-byte Folded Spill
	v_add_u32_e32 v52, s13, v52
	global_load_dwordx4 v[41:44], v[41:42], off
	s_mov_b32 s14, 0x134454ff
	global_load_dwordx4 v[45:48], v[51:52], off
	global_load_dwordx4 v[137:140], v61, s[0:1]
	global_load_dwordx4 v[133:136], v0, s[0:1]
	v_mov_b32_e32 v0, s8
	v_add_co_u32_e32 v51, vcc, s9, v51
	v_addc_co_u32_e32 v52, vcc, v52, v0, vcc
	v_lshlrev_b32_e32 v0, 4, v77
	global_load_dwordx4 v[78:81], v[51:52], off
	global_load_dwordx4 v[141:144], v0, s[0:1]
	v_add_co_u32_e32 v51, vcc, s9, v51
	buffer_store_dword v0, off, s[36:39], 0 offset:520 ; 4-byte Folded Spill
	v_mov_b32_e32 v0, s8
	v_addc_co_u32_e32 v52, vcc, v52, v0, vcc
	v_lshlrev_b32_e32 v0, 4, v74
	global_load_dwordx4 v[145:148], v0, s[0:1]
	global_load_dwordx4 v[82:85], v[51:52], off
	v_add_co_u32_e32 v51, vcc, s9, v51
	buffer_store_dword v0, off, s[36:39], 0 offset:528 ; 4-byte Folded Spill
	v_mov_b32_e32 v0, s8
	v_addc_co_u32_e32 v52, vcc, v52, v0, vcc
	v_lshlrev_b32_e32 v0, 4, v73
	global_load_dwordx4 v[86:89], v[51:52], off
	global_load_dwordx4 v[149:152], v0, s[0:1]
	v_add_co_u32_e32 v51, vcc, s9, v51
	buffer_store_dword v0, off, s[36:39], 0 offset:532 ; 4-byte Folded Spill
	v_mov_b32_e32 v0, s8
	v_addc_co_u32_e32 v52, vcc, v52, v0, vcc
	v_lshlrev_b32_e32 v0, 4, v72
	global_load_dwordx4 v[153:156], v0, s[0:1]
	global_load_dwordx4 v[90:93], v[51:52], off
	v_add_co_u32_e32 v51, vcc, s9, v51
	buffer_store_dword v0, off, s[36:39], 0 offset:536 ; 4-byte Folded Spill
	v_mov_b32_e32 v0, s8
	v_addc_co_u32_e32 v52, vcc, v52, v0, vcc
	v_or_b32_e32 v0, 0x8800, v96
	global_load_dwordx4 v[113:116], v[51:52], off
	global_load_dwordx4 v[157:160], v0, s[0:1]
	v_mov_b32_e32 v0, s8
	v_add_co_u32_e32 v51, vcc, s9, v51
	v_addc_co_u32_e32 v52, vcc, v52, v0, vcc
	v_or_b32_e32 v0, 0xa000, v96
	global_load_dwordx4 v[161:164], v0, s[0:1]
	global_load_dwordx4 v[117:120], v[51:52], off
	s_waitcnt vmcnt(30)
	buffer_store_dword v99, off, s[36:39], 0 offset:456 ; 4-byte Folded Spill
	s_nop 0
	buffer_store_dword v100, off, s[36:39], 0 offset:460 ; 4-byte Folded Spill
	buffer_store_dword v101, off, s[36:39], 0 offset:464 ; 4-byte Folded Spill
	;; [unrolled: 1-line block ×3, first 2 shown]
	v_mov_b32_e32 v0, s8
	v_add_co_u32_e32 v51, vcc, s9, v51
	v_addc_co_u32_e32 v52, vcc, v52, v0, vcc
	s_waitcnt vmcnt(33)
	buffer_store_dword v103, off, s[36:39], 0 offset:440 ; 4-byte Folded Spill
	s_nop 0
	buffer_store_dword v104, off, s[36:39], 0 offset:444 ; 4-byte Folded Spill
	buffer_store_dword v105, off, s[36:39], 0 offset:448 ; 4-byte Folded Spill
	buffer_store_dword v106, off, s[36:39], 0 offset:452 ; 4-byte Folded Spill
	s_waitcnt vmcnt(36)
	buffer_store_dword v107, off, s[36:39], 0 offset:424 ; 4-byte Folded Spill
	s_nop 0
	buffer_store_dword v108, off, s[36:39], 0 offset:428 ; 4-byte Folded Spill
	buffer_store_dword v109, off, s[36:39], 0 offset:432 ; 4-byte Folded Spill
	buffer_store_dword v110, off, s[36:39], 0 offset:436 ; 4-byte Folded Spill
	;; [unrolled: 6-line block ×3, first 2 shown]
	global_load_dwordx4 v[121:124], v[51:52], off
	s_waitcnt vmcnt(43)
	buffer_store_dword v129, off, s[36:39], 0 offset:408 ; 4-byte Folded Spill
	s_nop 0
	buffer_store_dword v130, off, s[36:39], 0 offset:412 ; 4-byte Folded Spill
	buffer_store_dword v131, off, s[36:39], 0 offset:416 ; 4-byte Folded Spill
	;; [unrolled: 1-line block ×3, first 2 shown]
	v_or_b32_e32 v0, 0xb800, v96
	v_add_co_u32_e32 v51, vcc, s9, v51
	ds_write_b128 v96, v[1:4] offset:55296
	ds_write_b128 v96, v[17:20] offset:2048
	;; [unrolled: 1-line block ×3, first 2 shown]
	s_mov_b32 s15, 0x3fee6f0e
	s_mov_b32 s18, s14
	;; [unrolled: 1-line block ×5, first 2 shown]
	s_waitcnt vmcnt(46)
	v_mul_f64 v[53:54], v[23:24], v[101:102]
	v_mul_f64 v[55:56], v[21:22], v[101:102]
	s_waitcnt vmcnt(45)
	v_mul_f64 v[57:58], v[27:28], v[105:106]
	v_mul_f64 v[59:60], v[25:26], v[105:106]
	v_fma_f64 v[21:22], v[21:22], v[99:100], v[53:54]
	s_waitcnt vmcnt(44)
	v_mul_f64 v[63:64], v[31:32], v[109:110]
	s_waitcnt vmcnt(42)
	v_mul_f64 v[53:54], v[39:40], v[131:132]
	v_mul_f64 v[65:66], v[29:30], v[109:110]
	;; [unrolled: 1-line block ×4, first 2 shown]
	v_fma_f64 v[23:24], v[23:24], v[99:100], -v[55:56]
	v_mul_f64 v[55:56], v[37:38], v[131:132]
	v_fma_f64 v[25:26], v[25:26], v[103:104], v[57:58]
	v_fma_f64 v[27:28], v[27:28], v[103:104], -v[59:60]
	v_fma_f64 v[37:38], v[37:38], v[129:130], v[53:54]
	v_or_b32_e32 v53, 0xd000, v96
	v_fma_f64 v[29:30], v[29:30], v[107:108], v[63:64]
	v_fma_f64 v[31:32], v[31:32], v[107:108], -v[65:66]
	global_load_dwordx4 v[57:60], v0, s[0:1]
	global_load_dwordx4 v[63:66], v53, s[0:1]
	v_mov_b32_e32 v0, s8
	v_addc_co_u32_e32 v52, vcc, v52, v0, vcc
	v_fma_f64 v[33:34], v[33:34], v[125:126], v[94:95]
	v_fma_f64 v[35:36], v[35:36], v[125:126], -v[97:98]
	global_load_dwordx4 v[125:128], v[51:52], off
	v_add_co_u32_e32 v51, vcc, s9, v51
	v_addc_co_u32_e32 v52, vcc, v52, v0, vcc
	v_or_b32_e32 v0, 0xe800, v96
	global_load_dwordx4 v[1:4], v[51:52], off
	v_fma_f64 v[39:40], v[39:40], v[129:130], -v[55:56]
	global_load_dwordx4 v[51:54], v0, s[0:1]
	s_waitcnt vmcnt(43)
	buffer_store_dword v137, off, s[36:39], 0 offset:368 ; 4-byte Folded Spill
	s_nop 0
	buffer_store_dword v138, off, s[36:39], 0 offset:372 ; 4-byte Folded Spill
	buffer_store_dword v139, off, s[36:39], 0 offset:376 ; 4-byte Folded Spill
	;; [unrolled: 1-line block ×3, first 2 shown]
	ds_write_b128 v96, v[9:12] offset:14336
	s_waitcnt vmcnt(46)
	buffer_store_dword v133, off, s[36:39], 0 offset:336 ; 4-byte Folded Spill
	s_nop 0
	buffer_store_dword v134, off, s[36:39], 0 offset:340 ; 4-byte Folded Spill
	buffer_store_dword v135, off, s[36:39], 0 offset:344 ; 4-byte Folded Spill
	;; [unrolled: 1-line block ×3, first 2 shown]
	s_waitcnt vmcnt(48)
	buffer_store_dword v141, off, s[36:39], 0 offset:304 ; 4-byte Folded Spill
	s_nop 0
	buffer_store_dword v142, off, s[36:39], 0 offset:308 ; 4-byte Folded Spill
	buffer_store_dword v143, off, s[36:39], 0 offset:312 ; 4-byte Folded Spill
	;; [unrolled: 1-line block ×3, first 2 shown]
	ds_write_b128 v96, v[5:8] offset:20480
	s_load_dwordx4 s[8:11], s[10:11], 0x0
	v_mul_f64 v[13:14], v[43:44], v[139:140]
	v_mul_f64 v[15:16], v[41:42], v[139:140]
	;; [unrolled: 1-line block ×4, first 2 shown]
	v_fma_f64 v[9:10], v[41:42], v[137:138], v[13:14]
	v_mul_f64 v[13:14], v[45:46], v[135:136]
	v_fma_f64 v[11:12], v[43:44], v[137:138], -v[15:16]
	v_mul_f64 v[15:16], v[80:81], v[143:144]
	v_fma_f64 v[5:6], v[45:46], v[133:134], v[17:18]
	v_fma_f64 v[7:8], v[47:48], v[133:134], -v[13:14]
	v_fma_f64 v[13:14], v[78:79], v[141:142], v[15:16]
	v_fma_f64 v[15:16], v[80:81], v[141:142], -v[19:20]
	ds_write_b128 v96, v[21:24] offset:26624
	ds_write_b128 v96, v[25:28] offset:32768
	;; [unrolled: 1-line block ×8, first 2 shown]
	s_waitcnt vmcnt(50)
	buffer_store_dword v145, off, s[36:39], 0 offset:352 ; 4-byte Folded Spill
	s_nop 0
	buffer_store_dword v146, off, s[36:39], 0 offset:356 ; 4-byte Folded Spill
	buffer_store_dword v147, off, s[36:39], 0 offset:360 ; 4-byte Folded Spill
	buffer_store_dword v148, off, s[36:39], 0 offset:364 ; 4-byte Folded Spill
	s_waitcnt vmcnt(50)
	buffer_store_dword v149, off, s[36:39], 0 offset:320 ; 4-byte Folded Spill
	s_nop 0
	buffer_store_dword v150, off, s[36:39], 0 offset:324 ; 4-byte Folded Spill
	buffer_store_dword v151, off, s[36:39], 0 offset:328 ; 4-byte Folded Spill
	buffer_store_dword v152, off, s[36:39], 0 offset:332 ; 4-byte Folded Spill
	;; [unrolled: 6-line block ×4, first 2 shown]
	s_waitcnt vmcnt(32)
	v_mul_f64 v[25:26], v[123:124], v[59:60]
	v_mul_f64 v[27:28], v[121:122], v[59:60]
	buffer_store_dword v57, off, s[36:39], 0 offset:256 ; 4-byte Folded Spill
	s_nop 0
	buffer_store_dword v58, off, s[36:39], 0 offset:260 ; 4-byte Folded Spill
	buffer_store_dword v59, off, s[36:39], 0 offset:264 ; 4-byte Folded Spill
	;; [unrolled: 1-line block ×3, first 2 shown]
	s_waitcnt vmcnt(34)
	v_mul_f64 v[29:30], v[127:128], v[65:66]
	v_mul_f64 v[31:32], v[125:126], v[65:66]
	buffer_store_dword v63, off, s[36:39], 0 offset:224 ; 4-byte Folded Spill
	s_nop 0
	buffer_store_dword v64, off, s[36:39], 0 offset:228 ; 4-byte Folded Spill
	buffer_store_dword v65, off, s[36:39], 0 offset:232 ; 4-byte Folded Spill
	;; [unrolled: 1-line block ×3, first 2 shown]
	s_waitcnt vmcnt(36)
	buffer_store_dword v51, off, s[36:39], 0 offset:208 ; 4-byte Folded Spill
	s_nop 0
	buffer_store_dword v52, off, s[36:39], 0 offset:212 ; 4-byte Folded Spill
	buffer_store_dword v53, off, s[36:39], 0 offset:216 ; 4-byte Folded Spill
	;; [unrolled: 1-line block ×3, first 2 shown]
	v_mul_f64 v[21:22], v[119:120], v[163:164]
	v_mul_f64 v[23:24], v[117:118], v[163:164]
	buffer_store_dword v161, off, s[36:39], 0 offset:288 ; 4-byte Folded Spill
	s_nop 0
	buffer_store_dword v162, off, s[36:39], 0 offset:292 ; 4-byte Folded Spill
	buffer_store_dword v163, off, s[36:39], 0 offset:296 ; 4-byte Folded Spill
	;; [unrolled: 1-line block ×3, first 2 shown]
	v_mul_f64 v[5:6], v[84:85], v[147:148]
	v_mul_f64 v[7:8], v[82:83], v[147:148]
	;; [unrolled: 1-line block ×8, first 2 shown]
	v_fma_f64 v[5:6], v[82:83], v[145:146], v[5:6]
	v_mul_f64 v[33:34], v[3:4], v[53:54]
	v_mul_f64 v[35:36], v[1:2], v[53:54]
	v_fma_f64 v[7:8], v[84:85], v[145:146], -v[7:8]
	v_fma_f64 v[9:10], v[86:87], v[149:150], v[9:10]
	v_fma_f64 v[11:12], v[88:89], v[149:150], -v[11:12]
	v_fma_f64 v[13:14], v[90:91], v[153:154], v[13:14]
	v_fma_f64 v[15:16], v[92:93], v[153:154], -v[15:16]
	v_fma_f64 v[17:18], v[113:114], v[157:158], v[17:18]
	v_fma_f64 v[19:20], v[115:116], v[157:158], -v[19:20]
	v_fma_f64 v[21:22], v[117:118], v[161:162], v[21:22]
	v_fma_f64 v[23:24], v[119:120], v[161:162], -v[23:24]
	v_fma_f64 v[25:26], v[121:122], v[57:58], v[25:26]
	v_fma_f64 v[27:28], v[123:124], v[57:58], -v[27:28]
	v_fma_f64 v[29:30], v[125:126], v[63:64], v[29:30]
	v_fma_f64 v[31:32], v[127:128], v[63:64], -v[31:32]
	v_fma_f64 v[1:2], v[1:2], v[51:52], v[33:34]
	v_fma_f64 v[3:4], v[3:4], v[51:52], -v[35:36]
	ds_write_b128 v96, v[5:8] offset:16384
	ds_write_b128 v96, v[9:12] offset:22528
	;; [unrolled: 1-line block ×8, first 2 shown]
	s_waitcnt vmcnt(0) lgkmcnt(0)
	s_barrier
	ds_read_b128 v[1:4], v96 offset:12288
	ds_read_b128 v[5:8], v96
	ds_read_b128 v[9:12], v96 offset:24576
	s_waitcnt lgkmcnt(1)
	v_add_f64 v[13:14], v[5:6], v[1:2]
	v_add_f64 v[33:34], v[7:8], v[3:4]
	s_waitcnt lgkmcnt(0)
	v_add_f64 v[39:40], v[1:2], -v[9:10]
	v_add_f64 v[45:46], v[9:10], -v[1:2]
	;; [unrolled: 1-line block ×4, first 2 shown]
	v_add_f64 v[17:18], v[13:14], v[9:10]
	ds_read_b128 v[13:16], v96 offset:36864
	v_add_f64 v[33:34], v[33:34], v[11:12]
	s_waitcnt lgkmcnt(0)
	v_add_f64 v[31:32], v[9:10], v[13:14]
	v_add_f64 v[51:52], v[11:12], v[15:16]
	;; [unrolled: 1-line block ×3, first 2 shown]
	ds_read_b128 v[17:20], v96 offset:49152
	ds_read_b128 v[21:24], v96 offset:6144
	;; [unrolled: 1-line block ×3, first 2 shown]
	v_add_f64 v[33:34], v[33:34], v[15:16]
	v_add_f64 v[37:38], v[11:12], -v[15:16]
	s_waitcnt lgkmcnt(2)
	v_add_f64 v[43:44], v[1:2], v[17:18]
	v_add_f64 v[35:36], v[3:4], -v[19:20]
	s_waitcnt lgkmcnt(0)
	v_add_f64 v[63:64], v[21:22], v[25:26]
	v_add_f64 v[65:66], v[23:24], v[27:28]
	;; [unrolled: 1-line block ×3, first 2 shown]
	v_add_f64 v[41:42], v[17:18], -v[13:14]
	v_add_f64 v[47:48], v[13:14], -v[17:18]
	v_add_f64 v[17:18], v[1:2], -v[17:18]
	v_add_f64 v[59:60], v[3:4], v[19:20]
	ds_read_b128 v[1:4], v96 offset:30720
	v_add_f64 v[57:58], v[19:20], -v[15:16]
	v_add_f64 v[15:16], v[15:16], -v[19:20]
	v_add_f64 v[19:20], v[33:34], v[19:20]
	v_fma_f64 v[33:34], v[43:44], -0.5, v[5:6]
	s_waitcnt lgkmcnt(0)
	v_add_f64 v[43:44], v[63:64], v[1:2]
	v_add_f64 v[63:64], v[65:66], v[3:4]
	v_fma_f64 v[31:32], v[31:32], -0.5, v[5:6]
	v_add_f64 v[13:14], v[9:10], -v[13:14]
	ds_read_b128 v[9:12], v96 offset:43008
	v_fma_f64 v[51:52], v[51:52], -0.5, v[7:8]
	v_fma_f64 v[59:60], v[59:60], -0.5, v[7:8]
	ds_read_b128 v[5:8], v96 offset:55296
	v_add_f64 v[84:85], v[25:26], -v[1:2]
	s_waitcnt lgkmcnt(1)
	v_add_f64 v[65:66], v[1:2], v[9:10]
	v_add_f64 v[82:83], v[3:4], -v[11:12]
	v_add_f64 v[86:87], v[1:2], -v[25:26]
	v_add_f64 v[78:79], v[3:4], v[11:12]
	v_add_f64 v[0:1], v[1:2], -v[9:10]
	v_add_f64 v[88:89], v[27:28], -v[3:4]
	;; [unrolled: 1-line block ×3, first 2 shown]
	s_waitcnt lgkmcnt(0)
	v_add_f64 v[90:91], v[27:28], -v[7:8]
	v_add_f64 v[27:28], v[27:28], v[7:8]
	v_add_f64 v[43:44], v[43:44], v[9:10]
	;; [unrolled: 1-line block ×4, first 2 shown]
	v_add_f64 v[25:26], v[25:26], -v[5:6]
	v_add_f64 v[92:93], v[5:6], -v[9:10]
	;; [unrolled: 1-line block ×5, first 2 shown]
	v_add_f64 v[4:5], v[43:44], v[5:6]
	v_add_f64 v[6:7], v[63:64], v[7:8]
	v_fma_f64 v[63:64], v[65:66], -0.5, v[21:22]
	v_fma_f64 v[65:66], v[78:79], -0.5, v[23:24]
	;; [unrolled: 1-line block ×3, first 2 shown]
	v_add_f64 v[27:28], v[39:40], v[41:42]
	v_fma_f64 v[39:40], v[35:36], s[14:15], v[31:32]
	v_fma_f64 v[31:32], v[35:36], s[18:19], v[31:32]
	;; [unrolled: 1-line block ×4, first 2 shown]
	v_fma_f64 v[21:22], v[80:81], -0.5, v[21:22]
	v_add_f64 v[15:16], v[55:56], v[15:16]
	v_fma_f64 v[55:56], v[90:91], s[18:19], v[63:64]
	v_add_f64 v[8:9], v[86:87], v[9:10]
	v_fma_f64 v[39:40], v[37:38], s[12:13], v[39:40]
	v_fma_f64 v[31:32], v[37:38], s[16:17], v[31:32]
	v_add_f64 v[37:38], v[45:46], v[47:48]
	v_fma_f64 v[78:79], v[35:36], s[12:13], v[78:79]
	v_fma_f64 v[33:34], v[35:36], s[16:17], v[33:34]
	v_add_f64 v[2:3], v[2:3], v[11:12]
	v_fma_f64 v[10:11], v[25:26], s[18:19], v[65:66]
	v_fma_f64 v[65:66], v[25:26], s[14:15], v[65:66]
	v_fma_f64 v[35:36], v[27:28], s[20:21], v[39:40]
	;; [unrolled: 1-line block ×7, first 2 shown]
	v_add_f64 v[37:38], v[53:54], v[57:58]
	v_fma_f64 v[53:54], v[13:14], s[14:15], v[59:60]
	v_fma_f64 v[57:58], v[13:14], s[18:19], v[59:60]
	v_add_f64 v[59:60], v[84:85], v[92:93]
	v_fma_f64 v[27:28], v[13:14], s[16:17], v[27:28]
	v_fma_f64 v[13:14], v[13:14], s[12:13], v[39:40]
	;; [unrolled: 1-line block ×18, first 2 shown]
	v_add_f64 v[12:13], v[88:89], v[94:95]
	v_fma_f64 v[10:11], v[0:1], s[16:17], v[10:11]
	v_fma_f64 v[0:1], v[0:1], s[12:13], v[65:66]
	;; [unrolled: 1-line block ×11, first 2 shown]
	v_mul_f64 v[12:13], v[16:17], s[14:15]
	v_mul_f64 v[14:15], v[23:24], s[26:27]
	;; [unrolled: 1-line block ×6, first 2 shown]
	ds_read_b128 v[41:44], v96 offset:2048
	v_mul_f64 v[59:60], v[2:3], s[24:25]
	v_fma_f64 v[39:40], v[39:40], s[20:21], v[12:13]
	v_fma_f64 v[65:66], v[10:11], s[12:13], v[14:15]
	;; [unrolled: 1-line block ×3, first 2 shown]
	ds_read_b128 v[45:48], v96 offset:14336
	v_mul_f64 v[63:64], v[0:1], s[22:23]
	v_fma_f64 v[88:89], v[16:17], s[20:21], v[23:24]
	v_fma_f64 v[55:56], v[2:3], s[14:15], v[55:56]
	;; [unrolled: 1-line block ×4, first 2 shown]
	v_add_f64 v[13:14], v[29:30], v[4:5]
	v_add_f64 v[15:16], v[19:20], v[6:7]
	v_add_f64 v[1:2], v[29:30], -v[4:5]
	v_add_f64 v[3:4], v[19:20], -v[6:7]
	v_add_f64 v[17:18], v[35:36], v[65:66]
	v_add_f64 v[19:20], v[27:28], v[10:11]
	v_add_f64 v[5:6], v[35:36], -v[65:66]
	v_add_f64 v[7:8], v[27:28], -v[10:11]
	v_add_f64 v[21:22], v[51:52], v[39:40]
	v_add_f64 v[9:10], v[51:52], -v[39:40]
	s_waitcnt lgkmcnt(0)
	v_add_f64 v[51:52], v[41:42], v[45:46]
	v_add_f64 v[65:66], v[43:44], v[47:48]
	ds_read_b128 v[78:81], v96 offset:26624
	v_fma_f64 v[63:64], v[25:26], s[16:17], v[63:64]
	ds_read_b128 v[82:85], v96 offset:38912
	v_add_f64 v[27:28], v[53:54], v[59:60]
	v_add_f64 v[35:36], v[53:54], -v[59:60]
	v_add_f64 v[23:24], v[37:38], v[88:89]
	s_waitcnt lgkmcnt(1)
	v_add_f64 v[51:52], v[51:52], v[78:79]
	v_add_f64 v[53:54], v[65:66], v[80:81]
	v_add_f64 v[11:12], v[37:38], -v[88:89]
	v_add_f64 v[25:26], v[33:34], v[55:56]
	v_add_f64 v[33:34], v[33:34], -v[55:56]
	v_add_f64 v[37:38], v[31:32], v[57:58]
	v_add_f64 v[39:40], v[86:87], v[63:64]
	v_add_f64 v[29:30], v[31:32], -v[57:58]
	v_add_f64 v[31:32], v[86:87], -v[63:64]
	s_waitcnt lgkmcnt(0)
	v_add_f64 v[55:56], v[78:79], v[82:83]
	v_add_f64 v[57:58], v[80:81], -v[84:85]
	v_add_f64 v[59:60], v[45:46], -v[78:79]
	;; [unrolled: 1-line block ×3, first 2 shown]
	v_add_f64 v[65:66], v[80:81], v[84:85]
	v_add_f64 v[94:95], v[78:79], -v[82:83]
	v_add_f64 v[90:91], v[47:48], -v[80:81]
	;; [unrolled: 1-line block ×3, first 2 shown]
	ds_read_b128 v[78:81], v96 offset:51200
	v_fma_f64 v[55:56], v[55:56], -0.5, v[41:42]
	v_mul_u32_u24_e32 v0, 10, v253
	v_lshlrev_b32_e32 v255, 4, v0
	v_fma_f64 v[65:66], v[65:66], -0.5, v[43:44]
	s_waitcnt lgkmcnt(0)
	v_add_f64 v[97:98], v[47:48], -v[80:81]
	v_add_f64 v[99:100], v[45:46], v[78:79]
	v_add_f64 v[101:102], v[45:46], -v[78:79]
	v_add_f64 v[103:104], v[47:48], v[80:81]
	v_add_f64 v[45:46], v[51:52], v[82:83]
	;; [unrolled: 1-line block ×3, first 2 shown]
	v_add_f64 v[51:52], v[78:79], -v[82:83]
	v_add_f64 v[53:54], v[82:83], -v[78:79]
	;; [unrolled: 1-line block ×4, first 2 shown]
	v_fma_f64 v[99:100], v[99:100], -0.5, v[41:42]
	v_fma_f64 v[103:104], v[103:104], -0.5, v[43:44]
	v_add_f64 v[109:110], v[45:46], v[78:79]
	v_add_f64 v[111:112], v[47:48], v[80:81]
	ds_read_b128 v[45:48], v96 offset:20480
	ds_read_b128 v[78:81], v96 offset:8192
	;; [unrolled: 1-line block ×3, first 2 shown]
	v_add_f64 v[51:52], v[59:60], v[51:52]
	v_add_f64 v[59:60], v[90:91], v[105:106]
	;; [unrolled: 1-line block ×3, first 2 shown]
	s_waitcnt lgkmcnt(1)
	v_add_f64 v[86:87], v[78:79], v[45:46]
	s_waitcnt lgkmcnt(0)
	v_add_f64 v[119:120], v[45:46], -v[82:83]
	v_add_f64 v[123:124], v[82:83], -v[45:46]
	;; [unrolled: 1-line block ×4, first 2 shown]
	v_add_f64 v[63:64], v[92:93], v[107:108]
	v_add_f64 v[113:114], v[86:87], v[82:83]
	;; [unrolled: 1-line block ×4, first 2 shown]
	ds_read_b128 v[86:89], v96 offset:45056
	s_waitcnt lgkmcnt(0)
	v_add_f64 v[117:118], v[82:83], v[86:87]
	v_add_f64 v[121:122], v[84:85], -v[88:89]
	v_add_f64 v[125:126], v[84:85], v[88:89]
	v_add_f64 v[127:128], v[82:83], -v[86:87]
	ds_read_b128 v[82:85], v96 offset:57344
	v_fma_f64 v[141:142], v[117:118], -0.5, v[78:79]
	s_waitcnt lgkmcnt(0)
	v_add_f64 v[133:134], v[47:48], -v[84:85]
	v_add_f64 v[135:136], v[45:46], v[82:83]
	v_add_f64 v[137:138], v[45:46], -v[82:83]
	v_add_f64 v[45:46], v[47:48], v[84:85]
	v_add_f64 v[47:48], v[113:114], v[86:87]
	;; [unrolled: 1-line block ×3, first 2 shown]
	v_add_f64 v[115:116], v[82:83], -v[86:87]
	v_add_f64 v[86:87], v[86:87], -v[82:83]
	v_fma_f64 v[125:126], v[125:126], -0.5, v[80:81]
	v_add_f64 v[139:140], v[84:85], -v[88:89]
	v_add_f64 v[88:89], v[88:89], -v[84:85]
	v_fma_f64 v[117:118], v[45:46], -0.5, v[80:81]
	v_add_f64 v[47:48], v[47:48], v[82:83]
	v_add_f64 v[82:83], v[113:114], v[84:85]
	v_fma_f64 v[113:114], v[135:136], -0.5, v[78:79]
	v_fma_f64 v[78:79], v[133:134], s[14:15], v[141:142]
	v_add_f64 v[105:106], v[119:120], v[115:116]
	v_fma_f64 v[80:81], v[137:138], s[18:19], v[125:126]
	v_add_f64 v[107:108], v[123:124], v[86:87]
	;; [unrolled: 2-line block ×3, first 2 shown]
	v_add_f64 v[45:46], v[109:110], -v[47:48]
	v_add_f64 v[109:110], v[129:130], v[139:140]
	v_fma_f64 v[78:79], v[121:122], s[12:13], v[78:79]
	v_add_f64 v[43:44], v[111:112], v[82:83]
	v_fma_f64 v[80:81], v[127:128], s[16:17], v[80:81]
	v_add_f64 v[47:48], v[111:112], -v[82:83]
	v_fma_f64 v[86:87], v[137:138], s[16:17], v[86:87]
	v_fma_f64 v[78:79], v[105:106], s[20:21], v[78:79]
	;; [unrolled: 1-line block ×3, first 2 shown]
	v_mul_f64 v[82:83], v[78:79], s[26:27]
	v_mul_f64 v[78:79], v[78:79], s[16:17]
	v_fma_f64 v[82:83], v[80:81], s[12:13], v[82:83]
	v_fma_f64 v[84:85], v[80:81], s[26:27], v[78:79]
	;; [unrolled: 1-line block ×11, first 2 shown]
	v_add_f64 v[80:81], v[111:112], v[84:85]
	v_add_f64 v[84:85], v[111:112], -v[84:85]
	v_add_f64 v[111:112], v[131:132], v[88:89]
	v_fma_f64 v[88:89], v[121:122], s[18:19], v[113:114]
	v_add_f64 v[78:79], v[90:91], v[82:83]
	v_add_f64 v[82:83], v[90:91], -v[82:83]
	v_fma_f64 v[86:87], v[111:112], s[20:21], v[86:87]
	v_fma_f64 v[88:89], v[133:134], s[12:13], v[88:89]
	v_mul_f64 v[90:91], v[86:87], s[14:15]
	v_fma_f64 v[88:89], v[107:108], s[20:21], v[88:89]
	v_fma_f64 v[90:91], v[88:89], s[20:21], v[90:91]
	v_mul_f64 v[88:89], v[88:89], s[18:19]
	v_fma_f64 v[92:93], v[86:87], s[20:21], v[88:89]
	v_fma_f64 v[86:87], v[57:58], s[18:19], v[99:100]
	;; [unrolled: 1-line block ×12, first 2 shown]
	v_add_f64 v[86:87], v[115:116], v[90:91]
	v_add_f64 v[90:91], v[115:116], -v[90:91]
	v_fma_f64 v[99:100], v[101:102], s[12:13], v[99:100]
	v_add_f64 v[88:89], v[119:120], v[92:93]
	v_fma_f64 v[103:104], v[137:138], s[12:13], v[103:104]
	v_add_f64 v[92:93], v[119:120], -v[92:93]
	v_fma_f64 v[63:64], v[63:64], s[20:21], v[99:100]
	v_fma_f64 v[99:100], v[121:122], s[14:15], v[113:114]
	;; [unrolled: 1-line block ×5, first 2 shown]
	v_mul_f64 v[107:108], v[99:100], s[24:25]
	v_fma_f64 v[107:108], v[103:104], s[14:15], v[107:108]
	v_mul_f64 v[103:104], v[103:104], s[24:25]
	v_add_f64 v[113:114], v[53:54], v[107:108]
	v_fma_f64 v[99:100], v[99:100], s[18:19], v[103:104]
	v_add_f64 v[117:118], v[53:54], -v[107:108]
	v_fma_f64 v[53:54], v[133:134], s[18:19], v[141:142]
	ds_read_b128 v[129:132], v96 offset:4096
	ds_read_b128 v[133:136], v96 offset:16384
	;; [unrolled: 1-line block ×3, first 2 shown]
	v_add_f64 v[115:116], v[63:64], v[99:100]
	v_add_f64 v[119:120], v[63:64], -v[99:100]
	v_fma_f64 v[63:64], v[101:102], s[14:15], v[65:66]
	v_fma_f64 v[65:66], v[137:138], s[14:15], v[125:126]
	;; [unrolled: 1-line block ×3, first 2 shown]
	ds_read_b128 v[137:140], v96 offset:28672
	v_fma_f64 v[57:58], v[94:95], s[12:13], v[63:64]
	v_fma_f64 v[63:64], v[127:128], s[12:13], v[65:66]
	;; [unrolled: 1-line block ×3, first 2 shown]
	s_waitcnt lgkmcnt(0)
	v_add_f64 v[65:66], v[139:140], v[143:144]
	v_add_f64 v[94:95], v[137:138], -v[141:142]
	v_add_f64 v[97:98], v[135:136], -v[139:140]
	;; [unrolled: 1-line block ×3, first 2 shown]
	v_fma_f64 v[55:56], v[59:60], s[20:21], v[57:58]
	v_fma_f64 v[57:58], v[109:110], s[20:21], v[63:64]
	v_mul_f64 v[59:60], v[53:54], s[22:23]
	v_add_f64 v[63:64], v[137:138], -v[133:134]
	v_fma_f64 v[65:66], v[65:66], -0.5, v[131:132]
	v_fma_f64 v[59:60], v[57:58], s[12:13], v[59:60]
	v_mul_f64 v[57:58], v[57:58], s[22:23]
	v_add_f64 v[121:122], v[51:52], v[59:60]
	v_fma_f64 v[53:54], v[53:54], s[16:17], v[57:58]
	v_add_f64 v[125:126], v[51:52], -v[59:60]
	v_add_f64 v[51:52], v[129:130], v[133:134]
	v_add_f64 v[57:58], v[139:140], -v[143:144]
	v_add_f64 v[59:60], v[133:134], -v[137:138]
	v_add_f64 v[123:124], v[55:56], v[53:54]
	v_add_f64 v[127:128], v[55:56], -v[53:54]
	v_add_f64 v[53:54], v[131:132], v[135:136]
	v_add_f64 v[51:52], v[51:52], v[137:138]
	;; [unrolled: 1-line block ×5, first 2 shown]
	ds_read_b128 v[137:140], v96 offset:53248
	v_fma_f64 v[55:56], v[55:56], -0.5, v[129:130]
	s_waitcnt lgkmcnt(0)
	v_add_f64 v[101:102], v[135:136], -v[139:140]
	v_add_f64 v[53:54], v[53:54], v[143:144]
	v_add_f64 v[103:104], v[133:134], v[137:138]
	v_add_f64 v[105:106], v[133:134], -v[137:138]
	v_add_f64 v[107:108], v[135:136], v[139:140]
	v_add_f64 v[109:110], v[137:138], -v[141:142]
	v_add_f64 v[111:112], v[141:142], -v[137:138]
	;; [unrolled: 1-line block ×4, first 2 shown]
	v_add_f64 v[51:52], v[51:52], v[137:138]
	v_add_f64 v[53:54], v[53:54], v[139:140]
	ds_read_b128 v[133:136], v96 offset:10240
	ds_read_b128 v[137:140], v96 offset:22528
	;; [unrolled: 1-line block ×3, first 2 shown]
	v_fma_f64 v[103:104], v[103:104], -0.5, v[129:130]
	v_fma_f64 v[107:108], v[107:108], -0.5, v[131:132]
	v_add_f64 v[63:64], v[63:64], v[111:112]
	s_waitcnt lgkmcnt(1)
	v_add_f64 v[145:146], v[133:134], v[137:138]
	s_waitcnt lgkmcnt(0)
	v_add_f64 v[159:160], v[137:138], -v[141:142]
	v_add_f64 v[163:164], v[141:142], -v[137:138]
	;; [unrolled: 1-line block ×4, first 2 shown]
	v_add_f64 v[99:100], v[99:100], v[151:152]
	v_add_f64 v[153:154], v[145:146], v[141:142]
	;; [unrolled: 1-line block ×4, first 2 shown]
	ds_read_b128 v[145:148], v96 offset:47104
	s_waitcnt lgkmcnt(0)
	v_add_f64 v[157:158], v[141:142], v[145:146]
	v_add_f64 v[161:162], v[143:144], -v[147:148]
	v_add_f64 v[165:166], v[143:144], v[147:148]
	v_add_f64 v[167:168], v[141:142], -v[145:146]
	ds_read_b128 v[141:144], v96 offset:59392
	s_waitcnt lgkmcnt(0)
	s_barrier
	v_fma_f64 v[181:182], v[157:158], -0.5, v[133:134]
	v_add_f64 v[173:174], v[139:140], -v[143:144]
	v_add_f64 v[175:176], v[137:138], v[141:142]
	v_add_f64 v[177:178], v[137:138], -v[141:142]
	v_add_f64 v[137:138], v[139:140], v[143:144]
	v_add_f64 v[139:140], v[153:154], v[145:146]
	;; [unrolled: 1-line block ×3, first 2 shown]
	v_add_f64 v[155:156], v[141:142], -v[145:146]
	v_add_f64 v[145:146], v[145:146], -v[141:142]
	v_fma_f64 v[165:166], v[165:166], -0.5, v[135:136]
	v_add_f64 v[179:180], v[143:144], -v[147:148]
	v_add_f64 v[147:148], v[147:148], -v[143:144]
	v_fma_f64 v[157:158], v[137:138], -0.5, v[135:136]
	v_add_f64 v[139:140], v[139:140], v[141:142]
	v_add_f64 v[141:142], v[153:154], v[143:144]
	v_fma_f64 v[153:154], v[175:176], -0.5, v[133:134]
	ds_write_b128 v255, v[13:16]
	ds_write_b128 v255, v[17:20] offset:16
	ds_write_b128 v255, v[21:24] offset:32
	;; [unrolled: 1-line block ×9, first 2 shown]
	v_fma_f64 v[137:138], v[177:178], s[18:19], v[165:166]
	v_or_b32_e32 v9, 0x80, v253
	v_add_f64 v[111:112], v[171:172], v[147:148]
	v_mul_u32_u24_e32 v0, 10, v9
	v_add_f64 v[129:130], v[51:52], v[139:140]
	v_add_f64 v[133:134], v[51:52], -v[139:140]
	v_add_f64 v[51:52], v[59:60], v[109:110]
	v_fma_f64 v[109:110], v[173:174], s[14:15], v[181:182]
	v_add_f64 v[59:60], v[159:160], v[155:156]
	v_add_f64 v[131:132], v[53:54], v[141:142]
	v_add_f64 v[135:136], v[53:54], -v[141:142]
	v_add_f64 v[53:54], v[97:98], v[149:150]
	v_add_f64 v[97:98], v[169:170], v[179:180]
	v_fma_f64 v[137:138], v[167:168], s[16:17], v[137:138]
	v_fma_f64 v[147:148], v[161:162], s[18:19], v[153:154]
	;; [unrolled: 1-line block ×3, first 2 shown]
	v_lshlrev_b32_e32 v254, 4, v0
	v_mul_u32_u24_e32 v0, 10, v50
	v_lshlrev_b32_e32 v0, 4, v0
	ds_write_b128 v254, v[41:44]
	ds_write_b128 v254, v[78:81] offset:16
	ds_write_b128 v254, v[86:89] offset:32
	;; [unrolled: 1-line block ×9, first 2 shown]
	buffer_store_dword v0, off, s[36:39], 0 offset:540 ; 4-byte Folded Spill
	v_fma_f64 v[137:138], v[97:98], s[20:21], v[137:138]
	v_fma_f64 v[147:148], v[173:174], s[12:13], v[147:148]
	;; [unrolled: 1-line block ×3, first 2 shown]
	v_mov_b32_e32 v48, s3
	v_mul_f64 v[139:140], v[109:110], s[26:27]
	v_mul_f64 v[109:110], v[109:110], s[16:17]
	v_fma_f64 v[141:142], v[137:138], s[12:13], v[139:140]
	v_fma_f64 v[109:110], v[137:138], s[26:27], v[109:110]
	;; [unrolled: 1-line block ×12, first 2 shown]
	v_add_f64 v[137:138], v[143:144], v[141:142]
	v_add_f64 v[139:140], v[149:150], v[109:110]
	v_add_f64 v[141:142], v[143:144], -v[141:142]
	v_add_f64 v[143:144], v[149:150], -v[109:110]
	v_add_f64 v[109:110], v[163:164], v[145:146]
	v_fma_f64 v[145:146], v[167:168], s[14:15], v[157:158]
	v_fma_f64 v[147:148], v[109:110], s[20:21], v[147:148]
	v_fma_f64 v[145:146], v[177:178], s[16:17], v[145:146]
	v_fma_f64 v[145:146], v[111:112], s[20:21], v[145:146]
	v_mul_f64 v[149:150], v[145:146], s[14:15]
	v_fma_f64 v[149:150], v[147:148], s[20:21], v[149:150]
	v_mul_f64 v[147:148], v[147:148], s[18:19]
	v_fma_f64 v[151:152], v[145:146], s[20:21], v[147:148]
	v_fma_f64 v[145:146], v[57:58], s[18:19], v[103:104]
	;; [unrolled: 1-line block ×14, first 2 shown]
	v_add_f64 v[145:146], v[155:156], v[149:150]
	v_add_f64 v[149:150], v[155:156], -v[149:150]
	v_fma_f64 v[103:104], v[105:106], s[12:13], v[103:104]
	v_add_f64 v[147:148], v[159:160], v[151:152]
	v_fma_f64 v[107:108], v[177:178], s[12:13], v[107:108]
	v_add_f64 v[151:152], v[159:160], -v[151:152]
	v_fma_f64 v[99:100], v[99:100], s[20:21], v[103:104]
	v_fma_f64 v[103:104], v[161:162], s[14:15], v[153:154]
	v_fma_f64 v[107:108], v[111:112], s[20:21], v[107:108]
	v_fma_f64 v[103:104], v[173:174], s[16:17], v[103:104]
	v_fma_f64 v[103:104], v[109:110], s[20:21], v[103:104]
	v_mul_f64 v[109:110], v[103:104], s[24:25]
	v_fma_f64 v[109:110], v[107:108], s[14:15], v[109:110]
	v_mul_f64 v[107:108], v[107:108], s[24:25]
	v_add_f64 v[153:154], v[63:64], v[109:110]
	v_fma_f64 v[103:104], v[103:104], s[18:19], v[107:108]
	v_add_f64 v[157:158], v[63:64], -v[109:110]
	v_fma_f64 v[63:64], v[173:174], s[18:19], v[181:182]
	v_add_f64 v[155:156], v[99:100], v[103:104]
	v_add_f64 v[159:160], v[99:100], -v[103:104]
	v_fma_f64 v[99:100], v[177:178], s[14:15], v[165:166]
	v_fma_f64 v[63:64], v[161:162], s[16:17], v[63:64]
	v_fma_f64 v[65:66], v[167:168], s[12:13], v[99:100]
	v_fma_f64 v[59:60], v[59:60], s[20:21], v[63:64]
	v_fma_f64 v[55:56], v[97:98], s[20:21], v[65:66]
	v_mul_f64 v[57:58], v[59:60], s[22:23]
	v_fma_f64 v[57:58], v[55:56], s[12:13], v[57:58]
	v_mul_f64 v[55:56], v[55:56], s[22:23]
	v_add_f64 v[161:162], v[51:52], v[57:58]
	v_fma_f64 v[55:56], v[59:60], s[16:17], v[55:56]
	v_add_f64 v[165:166], v[51:52], -v[57:58]
	v_add_f64 v[163:164], v[53:54], v[55:56]
	v_add_f64 v[167:168], v[53:54], -v[55:56]
	ds_write_b128 v0, v[129:132]
	ds_write_b128 v0, v[137:140] offset:16
	ds_write_b128 v0, v[145:148] offset:32
	;; [unrolled: 1-line block ×9, first 2 shown]
	v_mul_lo_u16_e32 v0, 0x67, v253
	v_lshrrev_b16_e32 v78, 10, v0
	v_mul_lo_u16_e32 v0, 10, v78
	v_sub_u16_e32 v0, v253, v0
	v_and_b32_e32 v79, 0xff, v0
	v_mov_b32_e32 v0, s2
	v_mov_b32_e32 v1, s3
	v_mad_u64_u32 v[2:3], s[0:1], v79, s28, v[0:1]
	s_waitcnt vmcnt(0) lgkmcnt(0)
	s_barrier
	global_load_dwordx4 v[42:45], v[2:3], off
	global_load_dwordx4 v[38:41], v[2:3], off offset:16
	global_load_dwordx4 v[34:37], v[2:3], off offset:32
	;; [unrolled: 1-line block ×4, first 2 shown]
	v_mul_lo_u16_e32 v2, 0xcd, v9
	v_lshrrev_b16_e32 v80, 11, v2
	v_mul_lo_u16_e32 v2, 10, v80
	v_sub_u16_e32 v2, v9, v2
	v_and_b32_e32 v81, 0xff, v2
	v_mad_u64_u32 v[18:19], s[0:1], v81, s28, v[0:1]
	global_load_dwordx4 v[92:95], v[18:19], off
	global_load_dwordx4 v[101:104], v[18:19], off offset:16
	global_load_dwordx4 v[105:108], v[18:19], off offset:32
	ds_read_b128 v[1:4], v96 offset:10240
	ds_read_b128 v[5:8], v96 offset:20480
	s_waitcnt vmcnt(7)
	buffer_store_dword v42, off, s[36:39], 0 offset:672 ; 4-byte Folded Spill
	s_nop 0
	buffer_store_dword v43, off, s[36:39], 0 offset:676 ; 4-byte Folded Spill
	buffer_store_dword v44, off, s[36:39], 0 offset:680 ; 4-byte Folded Spill
	buffer_store_dword v45, off, s[36:39], 0 offset:684 ; 4-byte Folded Spill
	ds_read_b128 v[10:13], v96 offset:30720
	s_waitcnt vmcnt(10)
	buffer_store_dword v38, off, s[36:39], 0 offset:656 ; 4-byte Folded Spill
	s_nop 0
	buffer_store_dword v39, off, s[36:39], 0 offset:660 ; 4-byte Folded Spill
	buffer_store_dword v40, off, s[36:39], 0 offset:664 ; 4-byte Folded Spill
	buffer_store_dword v41, off, s[36:39], 0 offset:668 ; 4-byte Folded Spill
	;; [unrolled: 7-line block ×3, first 2 shown]
	s_mov_b32 s28, 0xe8584caa
	s_mov_b32 s29, 0x3febb67a
	;; [unrolled: 1-line block ×3, first 2 shown]
	s_movk_i32 s0, 0x78
	s_movk_i32 s1, 0xff88
	s_waitcnt lgkmcnt(3)
	v_mul_f64 v[20:21], v[3:4], v[44:45]
	v_mul_f64 v[22:23], v[1:2], v[44:45]
	s_waitcnt lgkmcnt(2)
	v_mul_f64 v[24:25], v[7:8], v[40:41]
	v_mul_f64 v[26:27], v[5:6], v[40:41]
	s_waitcnt lgkmcnt(1)
	v_mul_f64 v[28:29], v[10:11], v[36:37]
	v_fma_f64 v[54:55], v[1:2], v[42:43], -v[20:21]
	v_fma_f64 v[56:57], v[3:4], v[42:43], v[22:23]
	ds_read_b128 v[1:4], v96 offset:51200
	s_waitcnt vmcnt(16)
	buffer_store_dword v30, off, s[36:39], 0 offset:608 ; 4-byte Folded Spill
	s_nop 0
	buffer_store_dword v31, off, s[36:39], 0 offset:612 ; 4-byte Folded Spill
	buffer_store_dword v32, off, s[36:39], 0 offset:616 ; 4-byte Folded Spill
	;; [unrolled: 1-line block ×3, first 2 shown]
	s_waitcnt vmcnt(19)
	buffer_store_dword v82, off, s[36:39], 0 offset:592 ; 4-byte Folded Spill
	s_nop 0
	buffer_store_dword v83, off, s[36:39], 0 offset:596 ; 4-byte Folded Spill
	buffer_store_dword v84, off, s[36:39], 0 offset:600 ; 4-byte Folded Spill
	;; [unrolled: 1-line block ×3, first 2 shown]
	v_mul_f64 v[20:21], v[12:13], v[36:37]
	v_fma_f64 v[65:66], v[12:13], v[34:35], v[28:29]
	v_fma_f64 v[58:59], v[5:6], v[38:39], -v[24:25]
	v_fma_f64 v[60:61], v[7:8], v[38:39], v[26:27]
	ds_read_b128 v[5:8], v96 offset:12288
	v_fma_f64 v[63:64], v[10:11], v[34:35], -v[20:21]
	s_waitcnt lgkmcnt(2)
	v_mul_f64 v[22:23], v[16:17], v[32:33]
	s_waitcnt lgkmcnt(1)
	v_mul_f64 v[10:11], v[3:4], v[84:85]
	v_mul_f64 v[12:13], v[1:2], v[84:85]
	;; [unrolled: 1-line block ×3, first 2 shown]
	v_fma_f64 v[88:89], v[14:15], v[30:31], -v[22:23]
	s_waitcnt vmcnt(22)
	v_mov_b32_e32 v20, v92
	v_mov_b32_e32 v21, v93
	;; [unrolled: 1-line block ×4, first 2 shown]
	buffer_store_dword v20, off, s[36:39], 0 offset:576 ; 4-byte Folded Spill
	s_nop 0
	buffer_store_dword v21, off, s[36:39], 0 offset:580 ; 4-byte Folded Spill
	buffer_store_dword v22, off, s[36:39], 0 offset:584 ; 4-byte Folded Spill
	buffer_store_dword v23, off, s[36:39], 0 offset:588 ; 4-byte Folded Spill
	v_fma_f64 v[92:93], v[1:2], v[82:83], -v[10:11]
	v_fma_f64 v[94:95], v[3:4], v[82:83], v[12:13]
	s_waitcnt vmcnt(25)
	v_mov_b32_e32 v10, v101
	v_mov_b32_e32 v11, v102
	;; [unrolled: 1-line block ×4, first 2 shown]
	ds_read_b128 v[1:4], v96 offset:22528
	buffer_store_dword v10, off, s[36:39], 0 offset:560 ; 4-byte Folded Spill
	s_nop 0
	buffer_store_dword v11, off, s[36:39], 0 offset:564 ; 4-byte Folded Spill
	buffer_store_dword v12, off, s[36:39], 0 offset:568 ; 4-byte Folded Spill
	;; [unrolled: 1-line block ×3, first 2 shown]
	v_fma_f64 v[90:91], v[16:17], v[30:31], v[24:25]
	s_waitcnt lgkmcnt(1)
	v_mul_f64 v[14:15], v[7:8], v[22:23]
	v_mul_f64 v[16:17], v[5:6], v[22:23]
	v_fma_f64 v[97:98], v[5:6], v[20:21], -v[14:15]
	v_fma_f64 v[99:100], v[7:8], v[20:21], v[16:17]
	s_waitcnt lgkmcnt(0)
	v_mul_f64 v[5:6], v[3:4], v[12:13]
	v_mul_f64 v[7:8], v[1:2], v[12:13]
	v_fma_f64 v[101:102], v[1:2], v[10:11], -v[5:6]
	v_fma_f64 v[103:104], v[3:4], v[10:11], v[7:8]
	s_waitcnt vmcnt(28)
	v_mov_b32_e32 v10, v105
	v_mov_b32_e32 v11, v106
	;; [unrolled: 1-line block ×4, first 2 shown]
	ds_read_b128 v[1:4], v96 offset:32768
	buffer_store_dword v10, off, s[36:39], 0 offset:544 ; 4-byte Folded Spill
	s_nop 0
	buffer_store_dword v11, off, s[36:39], 0 offset:548 ; 4-byte Folded Spill
	buffer_store_dword v12, off, s[36:39], 0 offset:552 ; 4-byte Folded Spill
	;; [unrolled: 1-line block ×3, first 2 shown]
	s_waitcnt lgkmcnt(0)
	v_mul_f64 v[5:6], v[3:4], v[12:13]
	v_fma_f64 v[105:106], v[1:2], v[10:11], -v[5:6]
	v_mul_f64 v[0:1], v[1:2], v[12:13]
	v_fma_f64 v[107:108], v[3:4], v[10:11], v[0:1]
	global_load_dwordx4 v[10:13], v[18:19], off offset:48
	s_waitcnt vmcnt(0)
	buffer_store_dword v10, off, s[36:39], 0 offset:624 ; 4-byte Folded Spill
	s_nop 0
	buffer_store_dword v11, off, s[36:39], 0 offset:628 ; 4-byte Folded Spill
	buffer_store_dword v12, off, s[36:39], 0 offset:632 ; 4-byte Folded Spill
	;; [unrolled: 1-line block ×3, first 2 shown]
	ds_read_b128 v[1:4], v96 offset:43008
	s_waitcnt lgkmcnt(0)
	v_mul_f64 v[5:6], v[3:4], v[12:13]
	v_fma_f64 v[109:110], v[1:2], v[10:11], -v[5:6]
	v_mul_f64 v[0:1], v[1:2], v[12:13]
	v_fma_f64 v[111:112], v[3:4], v[10:11], v[0:1]
	global_load_dwordx4 v[10:13], v[18:19], off offset:64
	s_waitcnt vmcnt(0)
	buffer_store_dword v10, off, s[36:39], 0 offset:688 ; 4-byte Folded Spill
	s_nop 0
	buffer_store_dword v11, off, s[36:39], 0 offset:692 ; 4-byte Folded Spill
	buffer_store_dword v12, off, s[36:39], 0 offset:696 ; 4-byte Folded Spill
	;; [unrolled: 1-line block ×3, first 2 shown]
	ds_read_b128 v[1:4], v96 offset:53248
	s_waitcnt lgkmcnt(0)
	v_mul_f64 v[5:6], v[3:4], v[12:13]
	v_fma_f64 v[129:130], v[1:2], v[10:11], -v[5:6]
	v_mul_f64 v[0:1], v[1:2], v[12:13]
	v_fma_f64 v[131:132], v[3:4], v[10:11], v[0:1]
	v_mul_u32_u24_e32 v0, 0x199a, v50
	v_lshrrev_b32_e32 v82, 16, v0
	v_mul_lo_u16_e32 v0, 10, v82
	v_sub_u16_e32 v83, v50, v0
	v_mul_lo_u16_e32 v0, 0x50, v83
	v_add_co_u32_e32 v5, vcc, s2, v0
	v_addc_co_u32_e32 v6, vcc, 0, v48, vcc
	global_load_dwordx4 v[10:13], v[5:6], off
	ds_read_b128 v[1:4], v96 offset:14336
	s_waitcnt vmcnt(0) lgkmcnt(0)
	v_mul_f64 v[7:8], v[3:4], v[12:13]
	v_fma_f64 v[32:33], v[1:2], v[10:11], -v[7:8]
	buffer_store_dword v10, off, s[36:39], 0 offset:704 ; 4-byte Folded Spill
	s_nop 0
	buffer_store_dword v11, off, s[36:39], 0 offset:708 ; 4-byte Folded Spill
	buffer_store_dword v12, off, s[36:39], 0 offset:712 ; 4-byte Folded Spill
	;; [unrolled: 1-line block ×3, first 2 shown]
	v_mul_f64 v[0:1], v[1:2], v[12:13]
	v_fma_f64 v[40:41], v[3:4], v[10:11], v[0:1]
	global_load_dwordx4 v[10:13], v[5:6], off offset:16
	s_waitcnt vmcnt(0)
	buffer_store_dword v10, off, s[36:39], 0 offset:720 ; 4-byte Folded Spill
	s_nop 0
	buffer_store_dword v11, off, s[36:39], 0 offset:724 ; 4-byte Folded Spill
	buffer_store_dword v12, off, s[36:39], 0 offset:728 ; 4-byte Folded Spill
	buffer_store_dword v13, off, s[36:39], 0 offset:732 ; 4-byte Folded Spill
	ds_read_b128 v[1:4], v96 offset:24576
	s_waitcnt lgkmcnt(0)
	v_mul_f64 v[7:8], v[3:4], v[12:13]
	v_fma_f64 v[44:45], v[1:2], v[10:11], -v[7:8]
	v_mul_f64 v[0:1], v[1:2], v[12:13]
	v_fma_f64 v[52:53], v[3:4], v[10:11], v[0:1]
	global_load_dwordx4 v[10:13], v[5:6], off offset:32
	s_waitcnt vmcnt(0)
	buffer_store_dword v10, off, s[36:39], 0 offset:736 ; 4-byte Folded Spill
	s_nop 0
	buffer_store_dword v11, off, s[36:39], 0 offset:740 ; 4-byte Folded Spill
	buffer_store_dword v12, off, s[36:39], 0 offset:744 ; 4-byte Folded Spill
	buffer_store_dword v13, off, s[36:39], 0 offset:748 ; 4-byte Folded Spill
	ds_read_b128 v[1:4], v96 offset:34816
	s_waitcnt lgkmcnt(0)
	v_mul_f64 v[7:8], v[3:4], v[12:13]
	v_fma_f64 v[153:154], v[1:2], v[10:11], -v[7:8]
	;; [unrolled: 13-line block ×3, first 2 shown]
	v_mul_f64 v[0:1], v[1:2], v[12:13]
	v_fma_f64 v[159:160], v[3:4], v[10:11], v[0:1]
	global_load_dwordx4 v[10:13], v[5:6], off offset:64
	ds_read_b128 v[1:4], v96 offset:55296
	s_waitcnt vmcnt(0) lgkmcnt(0)
	v_mul_f64 v[5:6], v[3:4], v[12:13]
	v_fma_f64 v[161:162], v[1:2], v[10:11], -v[5:6]
	buffer_store_dword v10, off, s[36:39], 0 offset:768 ; 4-byte Folded Spill
	s_nop 0
	buffer_store_dword v11, off, s[36:39], 0 offset:772 ; 4-byte Folded Spill
	buffer_store_dword v12, off, s[36:39], 0 offset:776 ; 4-byte Folded Spill
	;; [unrolled: 1-line block ×3, first 2 shown]
	v_mul_f64 v[0:1], v[1:2], v[12:13]
	v_fma_f64 v[163:164], v[3:4], v[10:11], v[0:1]
	v_mul_u32_u24_e32 v0, 0x199a, v49
	v_lshrrev_b32_e32 v84, 16, v0
	v_mul_lo_u16_e32 v0, 10, v84
	v_sub_u16_e32 v85, v49, v0
	v_mul_lo_u16_e32 v0, 0x50, v85
	v_add_co_u32_e32 v5, vcc, s2, v0
	v_addc_co_u32_e32 v6, vcc, 0, v48, vcc
	global_load_dwordx4 v[10:13], v[5:6], off
	ds_read_b128 v[1:4], v96 offset:16384
	s_waitcnt vmcnt(0) lgkmcnt(0)
	v_mul_f64 v[7:8], v[3:4], v[12:13]
	v_fma_f64 v[22:23], v[1:2], v[10:11], -v[7:8]
	buffer_store_dword v10, off, s[36:39], 0 offset:784 ; 4-byte Folded Spill
	s_nop 0
	buffer_store_dword v11, off, s[36:39], 0 offset:788 ; 4-byte Folded Spill
	buffer_store_dword v12, off, s[36:39], 0 offset:792 ; 4-byte Folded Spill
	;; [unrolled: 1-line block ×3, first 2 shown]
	v_mul_f64 v[0:1], v[1:2], v[12:13]
	v_fma_f64 v[28:29], v[3:4], v[10:11], v[0:1]
	global_load_dwordx4 v[10:13], v[5:6], off offset:16
	s_waitcnt vmcnt(0)
	buffer_store_dword v10, off, s[36:39], 0 offset:800 ; 4-byte Folded Spill
	s_nop 0
	buffer_store_dword v11, off, s[36:39], 0 offset:804 ; 4-byte Folded Spill
	buffer_store_dword v12, off, s[36:39], 0 offset:808 ; 4-byte Folded Spill
	buffer_store_dword v13, off, s[36:39], 0 offset:812 ; 4-byte Folded Spill
	ds_read_b128 v[1:4], v96 offset:26624
	s_waitcnt lgkmcnt(0)
	v_mul_f64 v[7:8], v[3:4], v[12:13]
	v_fma_f64 v[30:31], v[1:2], v[10:11], -v[7:8]
	v_mul_f64 v[0:1], v[1:2], v[12:13]
	v_fma_f64 v[34:35], v[3:4], v[10:11], v[0:1]
	global_load_dwordx4 v[10:13], v[5:6], off offset:32
	s_waitcnt vmcnt(0)
	buffer_store_dword v10, off, s[36:39], 0 offset:816 ; 4-byte Folded Spill
	s_nop 0
	buffer_store_dword v11, off, s[36:39], 0 offset:820 ; 4-byte Folded Spill
	buffer_store_dword v12, off, s[36:39], 0 offset:824 ; 4-byte Folded Spill
	buffer_store_dword v13, off, s[36:39], 0 offset:828 ; 4-byte Folded Spill
	ds_read_b128 v[1:4], v96 offset:36864
	s_waitcnt lgkmcnt(0)
	v_mul_f64 v[7:8], v[3:4], v[12:13]
	v_fma_f64 v[42:43], v[1:2], v[10:11], -v[7:8]
	;; [unrolled: 13-line block ×4, first 2 shown]
	v_mul_f64 v[0:1], v[1:2], v[12:13]
	v_fma_f64 v[183:184], v[3:4], v[10:11], v[0:1]
	v_mul_u32_u24_e32 v0, 0x199a, v76
	v_lshrrev_b32_e32 v86, 16, v0
	v_mul_lo_u16_e32 v0, 10, v86
	v_sub_u16_e32 v87, v76, v0
	v_mul_lo_u16_e32 v0, 0x50, v87
	v_add_co_u32_e32 v5, vcc, s2, v0
	v_addc_co_u32_e32 v6, vcc, 0, v48, vcc
	global_load_dwordx4 v[12:15], v[5:6], off
	ds_read_b128 v[1:4], v96 offset:18432
	v_cmp_gt_u32_e32 vcc, s0, v253
	s_waitcnt vmcnt(0) lgkmcnt(0)
	v_mul_f64 v[7:8], v[3:4], v[14:15]
	v_fma_f64 v[10:11], v[1:2], v[12:13], -v[7:8]
	buffer_store_dword v12, off, s[36:39], 0 offset:864 ; 4-byte Folded Spill
	s_nop 0
	buffer_store_dword v13, off, s[36:39], 0 offset:868 ; 4-byte Folded Spill
	buffer_store_dword v14, off, s[36:39], 0 offset:872 ; 4-byte Folded Spill
	;; [unrolled: 1-line block ×3, first 2 shown]
	global_load_dwordx4 v[16:19], v[5:6], off offset:16
	s_waitcnt vmcnt(0)
	buffer_store_dword v16, off, s[36:39], 0 offset:880 ; 4-byte Folded Spill
	s_nop 0
	buffer_store_dword v17, off, s[36:39], 0 offset:884 ; 4-byte Folded Spill
	buffer_store_dword v18, off, s[36:39], 0 offset:888 ; 4-byte Folded Spill
	;; [unrolled: 1-line block ×3, first 2 shown]
	global_load_dwordx4 v[24:27], v[5:6], off offset:32
	v_mul_f64 v[0:1], v[1:2], v[14:15]
	v_fma_f64 v[12:13], v[3:4], v[12:13], v[0:1]
	ds_read_b128 v[1:4], v96 offset:28672
	s_waitcnt vmcnt(0)
	buffer_store_dword v24, off, s[36:39], 0 offset:896 ; 4-byte Folded Spill
	s_nop 0
	buffer_store_dword v25, off, s[36:39], 0 offset:900 ; 4-byte Folded Spill
	buffer_store_dword v26, off, s[36:39], 0 offset:904 ; 4-byte Folded Spill
	;; [unrolled: 1-line block ×3, first 2 shown]
	global_load_dwordx4 v[113:116], v[5:6], off offset:48
	s_waitcnt lgkmcnt(0)
	v_mul_f64 v[7:8], v[3:4], v[18:19]
	v_fma_f64 v[14:15], v[1:2], v[16:17], -v[7:8]
	v_mul_f64 v[0:1], v[1:2], v[18:19]
	v_fma_f64 v[16:17], v[3:4], v[16:17], v[0:1]
	ds_read_b128 v[1:4], v96 offset:38912
	s_waitcnt vmcnt(0)
	buffer_store_dword v113, off, s[36:39], 0 offset:916 ; 4-byte Folded Spill
	s_nop 0
	buffer_store_dword v114, off, s[36:39], 0 offset:920 ; 4-byte Folded Spill
	buffer_store_dword v115, off, s[36:39], 0 offset:924 ; 4-byte Folded Spill
	;; [unrolled: 1-line block ×3, first 2 shown]
	s_waitcnt lgkmcnt(0)
	v_mul_f64 v[7:8], v[3:4], v[26:27]
	v_fma_f64 v[20:21], v[1:2], v[24:25], -v[7:8]
	v_mul_f64 v[0:1], v[1:2], v[26:27]
	v_fma_f64 v[18:19], v[3:4], v[24:25], v[0:1]
	ds_read_b128 v[1:4], v96 offset:49152
	s_waitcnt lgkmcnt(0)
	v_mul_f64 v[7:8], v[3:4], v[115:116]
	v_fma_f64 v[24:25], v[1:2], v[113:114], -v[7:8]
	v_mul_f64 v[0:1], v[1:2], v[115:116]
	v_fma_f64 v[26:27], v[3:4], v[113:114], v[0:1]
	global_load_dwordx4 v[113:116], v[5:6], off offset:64
	s_waitcnt vmcnt(0)
	buffer_store_dword v113, off, s[36:39], 0 offset:948 ; 4-byte Folded Spill
	s_nop 0
	buffer_store_dword v114, off, s[36:39], 0 offset:952 ; 4-byte Folded Spill
	buffer_store_dword v115, off, s[36:39], 0 offset:956 ; 4-byte Folded Spill
	;; [unrolled: 1-line block ×3, first 2 shown]
	ds_read_b128 v[1:4], v96 offset:59392
	ds_read_b128 v[121:124], v96 offset:2048
	;; [unrolled: 1-line block ×4, first 2 shown]
	s_waitcnt lgkmcnt(3)
	v_mul_f64 v[5:6], v[3:4], v[115:116]
	v_fma_f64 v[46:47], v[1:2], v[113:114], -v[5:6]
	v_mul_f64 v[0:1], v[1:2], v[115:116]
	v_add_f64 v[5:6], v[58:59], v[88:89]
	v_fma_f64 v[38:39], v[3:4], v[113:114], v[0:1]
	ds_read_b128 v[1:4], v96
	s_waitcnt lgkmcnt(0)
	v_fma_f64 v[113:114], v[5:6], -0.5, v[1:2]
	v_add_f64 v[5:6], v[60:61], v[90:91]
	v_add_f64 v[0:1], v[1:2], v[58:59]
	v_add_f64 v[58:59], v[58:59], -v[88:89]
	v_fma_f64 v[115:116], v[5:6], -0.5, v[3:4]
	v_add_f64 v[2:3], v[3:4], v[60:61]
	v_add_f64 v[5:6], v[0:1], v[88:89]
	;; [unrolled: 1-line block ×3, first 2 shown]
	v_add_f64 v[60:61], v[60:61], -v[90:91]
	v_add_f64 v[7:8], v[2:3], v[90:91]
	v_add_f64 v[90:91], v[65:66], v[94:95]
	;; [unrolled: 1-line block ×4, first 2 shown]
	v_add_f64 v[65:66], v[65:66], -v[94:95]
	v_fma_f64 v[56:57], v[90:91], -0.5, v[56:57]
	v_add_f64 v[90:91], v[63:64], v[92:93]
	v_add_f64 v[63:64], v[63:64], -v[92:93]
	v_add_f64 v[119:120], v[0:1], v[94:95]
	v_add_f64 v[1:2], v[5:6], v[117:118]
	v_add_f64 v[5:6], v[5:6], -v[117:118]
	v_fma_f64 v[117:118], v[60:61], s[28:29], v[113:114]
	v_fma_f64 v[60:61], v[60:61], s[30:31], v[113:114]
	v_mul_u32_u24_e32 v0, 60, v78
	v_fma_f64 v[54:55], v[90:91], -0.5, v[54:55]
	v_fma_f64 v[88:89], v[63:64], s[30:31], v[56:57]
	v_fma_f64 v[56:57], v[63:64], s[28:29], v[56:57]
	v_add_f64 v[3:4], v[7:8], v[119:120]
	v_add_f64 v[7:8], v[7:8], -v[119:120]
	v_fma_f64 v[119:120], v[58:59], s[30:31], v[115:116]
	v_fma_f64 v[58:59], v[58:59], s[28:29], v[115:116]
	v_add_lshl_u32 v0, v0, v79, 4
	v_fma_f64 v[90:91], v[65:66], s[28:29], v[54:55]
	v_fma_f64 v[54:55], v[65:66], s[30:31], v[54:55]
	v_mul_f64 v[92:93], v[88:89], s[28:29]
	v_add_f64 v[65:66], v[99:100], v[107:108]
	buffer_store_dword v0, off, s[36:39], 0 offset:1120 ; 4-byte Folded Spill
	v_mul_f64 v[63:64], v[54:55], -0.5
	v_fma_f64 v[92:93], v[90:91], 0.5, v[92:93]
	v_mul_f64 v[90:91], v[90:91], s[30:31]
	v_add_f64 v[65:66], v[65:66], v[131:132]
	v_fma_f64 v[63:64], v[56:57], s[28:29], v[63:64]
	v_mul_f64 v[56:57], v[56:57], -0.5
	v_fma_f64 v[94:95], v[88:89], 0.5, v[90:91]
	v_add_f64 v[88:89], v[117:118], v[92:93]
	v_add_f64 v[92:93], v[117:118], -v[92:93]
	v_add_f64 v[113:114], v[60:61], v[63:64]
	v_fma_f64 v[54:55], v[54:55], s[30:31], v[56:57]
	v_add_f64 v[90:91], v[119:120], v[94:95]
	v_add_f64 v[94:95], v[119:120], -v[94:95]
	v_add_f64 v[117:118], v[60:61], -v[63:64]
	v_add_f64 v[60:61], v[123:124], v[103:104]
	v_add_f64 v[63:64], v[97:98], v[105:106]
	;; [unrolled: 1-line block ×4, first 2 shown]
	v_add_f64 v[119:120], v[58:59], -v[54:55]
	v_add_f64 v[58:59], v[121:122], v[101:102]
	v_add_f64 v[54:55], v[101:102], v[109:110]
	;; [unrolled: 1-line block ×4, first 2 shown]
	v_fma_f64 v[56:57], v[56:57], -0.5, v[123:124]
	v_add_f64 v[58:59], v[58:59], v[109:110]
	v_fma_f64 v[54:55], v[54:55], -0.5, v[121:122]
	v_add_f64 v[123:124], v[60:61], v[65:66]
	v_add_f64 v[127:128], v[60:61], -v[65:66]
	v_add_f64 v[60:61], v[105:106], v[129:130]
	v_add_f64 v[65:66], v[103:104], -v[111:112]
	;; [unrolled: 2-line block ×4, first 2 shown]
	v_fma_f64 v[60:61], v[60:61], -0.5, v[97:98]
	v_add_f64 v[97:98], v[107:108], -v[131:132]
	v_fma_f64 v[58:59], v[58:59], -0.5, v[99:100]
	v_add_f64 v[99:100], v[101:102], -v[109:110]
	v_fma_f64 v[103:104], v[97:98], s[28:29], v[60:61]
	v_fma_f64 v[60:61], v[97:98], s[30:31], v[60:61]
	;; [unrolled: 1-line block ×6, first 2 shown]
	v_mul_f64 v[63:64], v[60:61], -0.5
	v_mul_f64 v[105:106], v[101:102], s[28:29]
	v_fma_f64 v[63:64], v[58:59], s[28:29], v[63:64]
	v_mul_f64 v[58:59], v[58:59], -0.5
	v_fma_f64 v[105:106], v[103:104], 0.5, v[105:106]
	v_mul_f64 v[103:104], v[103:104], s[30:31]
	v_fma_f64 v[58:59], v[60:61], s[30:31], v[58:59]
	v_add_f64 v[60:61], v[147:148], v[52:53]
	v_fma_f64 v[101:102], v[101:102], 0.5, v[103:104]
	v_fma_f64 v[103:104], v[65:66], s[28:29], v[54:55]
	v_fma_f64 v[54:55], v[65:66], s[30:31], v[54:55]
	v_add_f64 v[65:66], v[40:41], v[155:156]
	v_add_f64 v[139:140], v[56:57], v[58:59]
	v_add_f64 v[143:144], v[56:57], -v[58:59]
	v_add_f64 v[58:59], v[145:146], v[44:45]
	v_add_f64 v[56:57], v[52:53], v[159:160]
	v_add_f64 v[60:61], v[60:61], v[159:160]
	v_add_f64 v[51:52], v[52:53], -v[159:160]
	v_add_f64 v[137:138], v[54:55], v[63:64]
	v_add_f64 v[141:142], v[54:55], -v[63:64]
	v_add_f64 v[63:64], v[32:33], v[153:154]
	v_add_f64 v[54:55], v[44:45], v[157:158]
	;; [unrolled: 1-line block ×4, first 2 shown]
	v_fma_f64 v[56:57], v[56:57], -0.5, v[147:148]
	v_add_f64 v[44:45], v[44:45], -v[157:158]
	v_add_f64 v[129:130], v[103:104], v[105:106]
	v_add_f64 v[131:132], v[107:108], v[101:102]
	;; [unrolled: 1-line block ×3, first 2 shown]
	v_fma_f64 v[54:55], v[54:55], -0.5, v[145:146]
	v_add_f64 v[133:134], v[103:104], -v[105:106]
	v_add_f64 v[147:148], v[60:61], v[65:66]
	v_add_f64 v[151:152], v[60:61], -v[65:66]
	v_add_f64 v[60:61], v[153:154], -v[161:162]
	v_fma_f64 v[99:100], v[44:45], s[30:31], v[56:57]
	v_fma_f64 v[44:45], v[44:45], s[28:29], v[56:57]
	v_add_f64 v[145:146], v[58:59], v[63:64]
	v_add_f64 v[149:150], v[58:59], -v[63:64]
	v_add_f64 v[58:59], v[155:156], v[163:164]
	v_add_f64 v[135:136], v[107:108], -v[101:102]
	v_fma_f64 v[40:41], v[58:59], -0.5, v[40:41]
	v_add_f64 v[58:59], v[153:154], v[161:162]
	v_fma_f64 v[63:64], v[60:61], s[30:31], v[40:41]
	v_fma_f64 v[32:33], v[58:59], -0.5, v[32:33]
	v_add_f64 v[58:59], v[155:156], -v[163:164]
	v_fma_f64 v[40:41], v[60:61], s[28:29], v[40:41]
	v_mul_f64 v[97:98], v[63:64], s[28:29]
	v_fma_f64 v[65:66], v[58:59], s[28:29], v[32:33]
	v_fma_f64 v[32:33], v[58:59], s[30:31], v[32:33]
	v_fma_f64 v[97:98], v[65:66], 0.5, v[97:98]
	v_mul_f64 v[65:66], v[65:66], s[30:31]
	v_fma_f64 v[63:64], v[63:64], 0.5, v[65:66]
	v_fma_f64 v[65:66], v[51:52], s[28:29], v[54:55]
	v_fma_f64 v[51:52], v[51:52], s[30:31], v[54:55]
	v_mul_f64 v[53:54], v[32:33], -0.5
	v_add_f64 v[55:56], v[28:29], v[36:37]
	v_add_f64 v[155:156], v[99:100], v[63:64]
	;; [unrolled: 1-line block ×3, first 2 shown]
	v_add_f64 v[157:158], v[65:66], -v[97:98]
	v_fma_f64 v[53:54], v[40:41], s[28:29], v[53:54]
	v_mul_f64 v[40:41], v[40:41], -0.5
	v_add_f64 v[55:56], v[55:56], v[183:184]
	v_add_f64 v[159:160], v[99:100], -v[63:64]
	v_add_f64 v[161:162], v[51:52], v[53:54]
	v_fma_f64 v[32:33], v[32:33], s[30:31], v[40:41]
	v_add_f64 v[165:166], v[51:52], -v[53:54]
	v_add_f64 v[53:54], v[22:23], v[42:43]
	v_add_f64 v[51:52], v[171:172], v[34:35]
	;; [unrolled: 1-line block ×3, first 2 shown]
	v_add_f64 v[167:168], v[44:45], -v[32:33]
	v_add_f64 v[32:33], v[30:31], v[177:178]
	v_add_f64 v[53:54], v[53:54], v[181:182]
	;; [unrolled: 1-line block ×3, first 2 shown]
	v_fma_f64 v[40:41], v[32:33], -0.5, v[169:170]
	v_add_f64 v[32:33], v[34:35], v[179:180]
	v_add_f64 v[175:176], v[51:52], -v[55:56]
	v_fma_f64 v[44:45], v[32:33], -0.5, v[171:172]
	v_add_f64 v[32:33], v[169:170], v[30:31]
	v_add_f64 v[171:172], v[51:52], v[55:56]
	v_add_f64 v[55:56], v[30:31], -v[177:178]
	v_add_f64 v[32:33], v[32:33], v[177:178]
	v_fma_f64 v[59:60], v[55:56], s[30:31], v[44:45]
	v_fma_f64 v[44:45], v[55:56], s[28:29], v[44:45]
	v_add_f64 v[55:56], v[12:13], v[18:19]
	v_add_f64 v[169:170], v[32:33], v[53:54]
	v_add_f64 v[173:174], v[32:33], -v[53:54]
	v_add_f64 v[32:33], v[36:37], v[183:184]
	v_add_f64 v[36:37], v[36:37], -v[183:184]
	v_add_f64 v[53:54], v[34:35], -v[179:180]
	v_add_f64 v[55:56], v[55:56], v[38:39]
	v_fma_f64 v[51:52], v[32:33], -0.5, v[28:29]
	v_add_f64 v[28:29], v[42:43], v[181:182]
	v_add_f64 v[42:43], v[42:43], -v[181:182]
	v_fma_f64 v[57:58], v[53:54], s[28:29], v[40:41]
	ds_read_b128 v[181:184], v96 offset:8192
	s_waitcnt vmcnt(0) lgkmcnt(0)
	s_barrier
	ds_write_b128 v0, v[1:4]
	ds_write_b128 v0, v[88:91] offset:160
	ds_write_b128 v0, v[113:116] offset:320
	;; [unrolled: 1-line block ×5, first 2 shown]
	v_fma_f64 v[22:23], v[28:29], -0.5, v[22:23]
	v_fma_f64 v[28:29], v[42:43], s[30:31], v[51:52]
	v_mul_u32_u24_e32 v0, 60, v80
	v_add_lshl_u32 v0, v0, v81, 4
	buffer_store_dword v0, off, s[36:39], 0 offset:1068 ; 4-byte Folded Spill
	ds_write_b128 v0, v[121:124]
	ds_write_b128 v0, v[129:132] offset:160
	ds_write_b128 v0, v[137:140] offset:320
	;; [unrolled: 1-line block ×5, first 2 shown]
	v_mad_legacy_u16 v0, v82, 60, v83
	v_lshlrev_b32_e32 v0, 4, v0
	v_fma_f64 v[30:31], v[36:37], s[28:29], v[22:23]
	v_fma_f64 v[22:23], v[36:37], s[30:31], v[22:23]
	;; [unrolled: 1-line block ×4, first 2 shown]
	v_add_f64 v[53:54], v[10:11], v[20:21]
	v_mul_f64 v[32:33], v[28:29], s[28:29]
	buffer_store_dword v0, off, s[36:39], 0 offset:1032 ; 4-byte Folded Spill
	ds_write_b128 v0, v[145:148]
	ds_write_b128 v0, v[153:156] offset:160
	ds_write_b128 v0, v[161:164] offset:320
	;; [unrolled: 1-line block ×5, first 2 shown]
	v_mad_legacy_u16 v0, v84, 60, v85
	v_mul_f64 v[42:43], v[22:23], -0.5
	v_lshlrev_b32_e32 v0, 4, v0
	buffer_store_dword v0, off, s[36:39], 0 offset:980 ; 4-byte Folded Spill
	v_add_f64 v[53:54], v[53:54], v[46:47]
	v_fma_f64 v[32:33], v[30:31], 0.5, v[32:33]
	v_mul_f64 v[30:31], v[30:31], s[30:31]
	v_fma_f64 v[51:52], v[40:41], s[28:29], v[42:43]
	v_mul_f64 v[40:41], v[40:41], -0.5
	v_fma_f64 v[34:35], v[28:29], 0.5, v[30:31]
	v_add_f64 v[28:29], v[57:58], v[32:33]
	v_add_f64 v[32:33], v[57:58], -v[32:33]
	v_add_f64 v[177:178], v[36:37], -v[51:52]
	v_fma_f64 v[22:23], v[22:23], s[30:31], v[40:41]
	v_add_f64 v[40:41], v[36:37], v[51:52]
	v_add_f64 v[51:52], v[183:184], v[16:17]
	;; [unrolled: 1-line block ×4, first 2 shown]
	v_add_f64 v[34:35], v[59:60], -v[34:35]
	v_add_f64 v[42:43], v[44:45], v[22:23]
	v_add_f64 v[179:180], v[44:45], -v[22:23]
	v_add_f64 v[44:45], v[181:182], v[14:15]
	v_add_f64 v[22:23], v[14:15], v[24:25]
	;; [unrolled: 1-line block ×3, first 2 shown]
	v_add_f64 v[26:27], v[16:17], -v[26:27]
	v_fma_f64 v[36:37], v[36:37], -0.5, v[183:184]
	ds_write_b128 v0, v[169:172]
	ds_write_b128 v0, v[28:31] offset:160
	ds_write_b128 v0, v[40:43] offset:320
	;; [unrolled: 1-line block ×5, first 2 shown]
	v_mad_legacy_u16 v0, v86, 60, v87
	v_lshlrev_b32_e32 v0, 4, v0
	v_add_f64 v[44:45], v[44:45], v[24:25]
	v_fma_f64 v[22:23], v[22:23], -0.5, v[181:182]
	v_add_f64 v[24:25], v[14:15], -v[24:25]
	v_add_f64 v[183:184], v[51:52], v[55:56]
	v_add_f64 v[187:188], v[51:52], -v[55:56]
	buffer_store_dword v0, off, s[36:39], 0 offset:912 ; 4-byte Folded Spill
	v_add_f64 v[181:182], v[44:45], v[53:54]
	v_add_f64 v[185:186], v[44:45], -v[53:54]
	v_add_f64 v[44:45], v[18:19], v[38:39]
	v_add_f64 v[18:19], v[18:19], -v[38:39]
	v_fma_f64 v[38:39], v[26:27], s[28:29], v[22:23]
	v_fma_f64 v[22:23], v[26:27], s[30:31], v[22:23]
	;; [unrolled: 1-line block ×4, first 2 shown]
	v_fma_f64 v[44:45], v[44:45], -0.5, v[12:13]
	v_add_f64 v[12:13], v[20:21], v[46:47]
	v_add_f64 v[20:21], v[20:21], -v[46:47]
	v_fma_f64 v[46:47], v[12:13], -0.5, v[10:11]
	v_fma_f64 v[10:11], v[20:21], s[30:31], v[44:45]
	v_fma_f64 v[20:21], v[20:21], s[28:29], v[44:45]
	;; [unrolled: 1-line block ×4, first 2 shown]
	v_mul_f64 v[14:15], v[10:11], s[28:29]
	v_mul_f64 v[26:27], v[18:19], -0.5
	v_fma_f64 v[14:15], v[12:13], 0.5, v[14:15]
	v_mul_f64 v[12:13], v[12:13], s[30:31]
	v_fma_f64 v[26:27], v[20:21], s[28:29], v[26:27]
	v_mul_f64 v[20:21], v[20:21], -0.5
	v_fma_f64 v[16:17], v[10:11], 0.5, v[12:13]
	v_add_f64 v[10:11], v[38:39], v[14:15]
	v_add_f64 v[14:15], v[38:39], -v[14:15]
	v_fma_f64 v[36:37], v[18:19], s[30:31], v[20:21]
	v_add_f64 v[12:13], v[51:52], v[16:17]
	v_add_f64 v[18:19], v[22:23], v[26:27]
	v_add_f64 v[16:17], v[51:52], -v[16:17]
	v_add_f64 v[22:23], v[22:23], -v[26:27]
	v_add_f64 v[20:21], v[24:25], v[36:37]
	v_add_f64 v[24:25], v[24:25], -v[36:37]
	ds_write_b128 v0, v[181:184]
	ds_write_b128 v0, v[10:13] offset:160
	ds_write_b128 v0, v[18:21] offset:320
	;; [unrolled: 1-line block ×5, first 2 shown]
	v_mul_lo_u16_e32 v0, 0x89, v253
	v_lshrrev_b16_e32 v1, 13, v0
	v_mul_lo_u16_e32 v0, 60, v1
	v_sub_u16_e32 v0, v253, v0
	v_and_b32_e32 v2, 0xff, v0
	v_lshlrev_b32_e32 v0, 4, v2
	s_waitcnt vmcnt(0) lgkmcnt(0)
	s_barrier
	global_load_dwordx4 v[10:13], v0, s[2:3] offset:800
	s_waitcnt vmcnt(0)
	buffer_store_dword v10, off, s[36:39], 0 offset:932 ; 4-byte Folded Spill
	s_nop 0
	buffer_store_dword v11, off, s[36:39], 0 offset:936 ; 4-byte Folded Spill
	buffer_store_dword v12, off, s[36:39], 0 offset:940 ; 4-byte Folded Spill
	;; [unrolled: 1-line block ×3, first 2 shown]
	ds_read_b128 v[3:6], v96 offset:30720
	v_mul_u32_u24_e32 v15, 0x445, v75
	v_lshrrev_b32_e32 v67, 16, v15
	v_mul_u32_u24_e32 v1, 0x78, v1
	v_add_lshl_u32 v1, v1, v2, 4
	s_waitcnt lgkmcnt(0)
	v_mul_f64 v[7:8], v[5:6], v[12:13]
	v_fma_f64 v[28:29], v[3:4], v[10:11], -v[7:8]
	v_mul_f64 v[3:4], v[3:4], v[12:13]
	v_fma_f64 v[30:31], v[5:6], v[10:11], v[3:4]
	v_mul_lo_u16_e32 v10, 0x89, v9
	v_lshrrev_b16_e32 v16, 13, v10
	v_mul_lo_u16_e32 v0, 60, v16
	v_sub_u16_e32 v0, v9, v0
	v_and_b32_e32 v17, 0xff, v0
	v_lshlrev_b32_e32 v0, 4, v17
	global_load_dwordx4 v[11:14], v0, s[2:3] offset:800
	s_waitcnt vmcnt(0)
	buffer_store_dword v11, off, s[36:39], 0 offset:964 ; 4-byte Folded Spill
	s_nop 0
	buffer_store_dword v12, off, s[36:39], 0 offset:968 ; 4-byte Folded Spill
	buffer_store_dword v13, off, s[36:39], 0 offset:972 ; 4-byte Folded Spill
	;; [unrolled: 1-line block ×3, first 2 shown]
	ds_read_b128 v[3:6], v96 offset:32768
	v_mul_u32_u24_e32 v0, 0x445, v50
	v_lshrrev_b32_e32 v18, 16, v0
	v_mul_lo_u16_e32 v0, 60, v18
	v_sub_u16_e32 v19, v50, v0
	v_lshlrev_b32_e32 v0, 4, v19
	s_waitcnt lgkmcnt(0)
	v_mul_f64 v[7:8], v[5:6], v[13:14]
	v_fma_f64 v[36:37], v[3:4], v[11:12], -v[7:8]
	v_mul_f64 v[3:4], v[3:4], v[13:14]
	v_fma_f64 v[38:39], v[5:6], v[11:12], v[3:4]
	global_load_dwordx4 v[11:14], v0, s[2:3] offset:800
	s_waitcnt vmcnt(0)
	buffer_store_dword v11, off, s[36:39], 0 offset:984 ; 4-byte Folded Spill
	s_nop 0
	buffer_store_dword v12, off, s[36:39], 0 offset:988 ; 4-byte Folded Spill
	buffer_store_dword v13, off, s[36:39], 0 offset:992 ; 4-byte Folded Spill
	;; [unrolled: 1-line block ×3, first 2 shown]
	ds_read_b128 v[3:6], v96 offset:34816
	v_mul_u32_u24_e32 v0, 0x445, v49
	v_lshrrev_b32_e32 v20, 16, v0
	v_mul_lo_u16_e32 v0, 60, v20
	v_sub_u16_e32 v21, v49, v0
	v_lshlrev_b32_e32 v0, 4, v21
	s_waitcnt lgkmcnt(0)
	v_mul_f64 v[7:8], v[5:6], v[13:14]
	v_fma_f64 v[44:45], v[3:4], v[11:12], -v[7:8]
	v_mul_f64 v[3:4], v[3:4], v[13:14]
	v_fma_f64 v[46:47], v[5:6], v[11:12], v[3:4]
	global_load_dwordx4 v[11:14], v0, s[2:3] offset:800
	s_waitcnt vmcnt(0)
	buffer_store_dword v11, off, s[36:39], 0 offset:1000 ; 4-byte Folded Spill
	s_nop 0
	buffer_store_dword v12, off, s[36:39], 0 offset:1004 ; 4-byte Folded Spill
	buffer_store_dword v13, off, s[36:39], 0 offset:1008 ; 4-byte Folded Spill
	buffer_store_dword v14, off, s[36:39], 0 offset:1012 ; 4-byte Folded Spill
	ds_read_b128 v[3:6], v96 offset:36864
	s_waitcnt lgkmcnt(0)
	v_mul_f64 v[7:8], v[5:6], v[13:14]
	v_fma_f64 v[51:52], v[3:4], v[11:12], -v[7:8]
	v_mul_f64 v[3:4], v[3:4], v[13:14]
	v_mul_u32_u24_e32 v13, 0x445, v76
	v_lshrrev_b32_e32 v22, 16, v13
	v_mul_lo_u16_e32 v0, 60, v22
	v_sub_u16_e32 v23, v76, v0
	v_lshlrev_b32_e32 v0, 4, v23
	global_load_dwordx4 v[24:27], v0, s[2:3] offset:800
	s_waitcnt vmcnt(0)
	buffer_store_dword v24, off, s[36:39], 0 offset:1016 ; 4-byte Folded Spill
	s_nop 0
	buffer_store_dword v25, off, s[36:39], 0 offset:1020 ; 4-byte Folded Spill
	buffer_store_dword v26, off, s[36:39], 0 offset:1024 ; 4-byte Folded Spill
	;; [unrolled: 1-line block ×3, first 2 shown]
	v_fma_f64 v[53:54], v[5:6], v[11:12], v[3:4]
	ds_read_b128 v[3:6], v96 offset:38912
	v_mul_u32_u24_e32 v14, 0x445, v77
	v_lshrrev_b32_e32 v0, 16, v14
	v_mul_u32_u24_e32 v12, 0x445, v62
	v_lshrrev_b32_e32 v194, 16, v12
	;; [unrolled: 2-line block ×3, first 2 shown]
	s_waitcnt lgkmcnt(0)
	v_mul_f64 v[7:8], v[5:6], v[26:27]
	v_fma_f64 v[55:56], v[3:4], v[24:25], -v[7:8]
	v_mul_f64 v[3:4], v[3:4], v[26:27]
	v_fma_f64 v[57:58], v[5:6], v[24:25], v[3:4]
	v_mul_lo_u16_e32 v3, 60, v0
	v_sub_u16_e32 v61, v77, v3
	v_lshlrev_b32_e32 v3, 4, v61
	global_load_dwordx4 v[24:27], v3, s[2:3] offset:800
	s_waitcnt vmcnt(0)
	buffer_store_dword v24, off, s[36:39], 0 offset:1036 ; 4-byte Folded Spill
	s_nop 0
	buffer_store_dword v25, off, s[36:39], 0 offset:1040 ; 4-byte Folded Spill
	buffer_store_dword v26, off, s[36:39], 0 offset:1044 ; 4-byte Folded Spill
	buffer_store_dword v27, off, s[36:39], 0 offset:1048 ; 4-byte Folded Spill
	ds_read_b128 v[3:6], v96 offset:40960
	v_mad_legacy_u16 v0, v0, s0, v61
	v_lshlrev_b32_e32 v0, 4, v0
	s_waitcnt lgkmcnt(0)
	v_mul_f64 v[7:8], v[5:6], v[26:27]
	v_fma_f64 v[59:60], v[3:4], v[24:25], -v[7:8]
	v_mul_f64 v[3:4], v[3:4], v[26:27]
	v_fma_f64 v[63:64], v[5:6], v[24:25], v[3:4]
	v_mul_lo_u16_e32 v3, 60, v67
	v_sub_u16_e32 v193, v75, v3
	v_lshlrev_b32_e32 v3, 4, v193
	global_load_dwordx4 v[24:27], v3, s[2:3] offset:800
	s_waitcnt vmcnt(0)
	buffer_store_dword v24, off, s[36:39], 0 offset:1052 ; 4-byte Folded Spill
	s_nop 0
	buffer_store_dword v25, off, s[36:39], 0 offset:1056 ; 4-byte Folded Spill
	buffer_store_dword v26, off, s[36:39], 0 offset:1060 ; 4-byte Folded Spill
	buffer_store_dword v27, off, s[36:39], 0 offset:1064 ; 4-byte Folded Spill
	ds_read_b128 v[3:6], v96 offset:43008
	s_waitcnt lgkmcnt(0)
	v_mul_f64 v[7:8], v[5:6], v[26:27]
	v_fma_f64 v[65:66], v[3:4], v[24:25], -v[7:8]
	v_mul_f64 v[3:4], v[3:4], v[26:27]
	v_fma_f64 v[94:95], v[5:6], v[24:25], v[3:4]
	v_mul_lo_u16_e32 v3, 60, v194
	v_sub_u16_e32 v195, v62, v3
	v_lshlrev_b32_e32 v3, 4, v195
	global_load_dwordx4 v[24:27], v3, s[2:3] offset:800
	s_waitcnt vmcnt(0)
	buffer_store_dword v24, off, s[36:39], 0 offset:1072 ; 4-byte Folded Spill
	s_nop 0
	buffer_store_dword v25, off, s[36:39], 0 offset:1076 ; 4-byte Folded Spill
	buffer_store_dword v26, off, s[36:39], 0 offset:1080 ; 4-byte Folded Spill
	buffer_store_dword v27, off, s[36:39], 0 offset:1084 ; 4-byte Folded Spill
	ds_read_b128 v[3:6], v96 offset:45056
	s_waitcnt lgkmcnt(0)
	v_mul_f64 v[7:8], v[5:6], v[26:27]
	v_fma_f64 v[97:98], v[3:4], v[24:25], -v[7:8]
	v_mul_f64 v[3:4], v[3:4], v[26:27]
	v_fma_f64 v[99:100], v[5:6], v[24:25], v[3:4]
	v_mul_lo_u16_e32 v3, 60, v196
	v_sub_u16_e32 v197, v74, v3
	v_lshlrev_b32_e32 v3, 4, v197
	global_load_dwordx4 v[24:27], v3, s[2:3] offset:800
	s_waitcnt vmcnt(0)
	buffer_store_dword v24, off, s[36:39], 0 offset:1088 ; 4-byte Folded Spill
	s_nop 0
	buffer_store_dword v25, off, s[36:39], 0 offset:1092 ; 4-byte Folded Spill
	buffer_store_dword v26, off, s[36:39], 0 offset:1096 ; 4-byte Folded Spill
	buffer_store_dword v27, off, s[36:39], 0 offset:1100 ; 4-byte Folded Spill
	ds_read_b128 v[3:6], v96 offset:47104
	s_waitcnt lgkmcnt(0)
	v_mul_f64 v[7:8], v[5:6], v[26:27]
	v_fma_f64 v[101:102], v[3:4], v[24:25], -v[7:8]
	v_mul_f64 v[3:4], v[3:4], v[26:27]
	v_mul_u32_u24_e32 v8, 0x889, v69
	v_lshrrev_b32_e32 v198, 17, v8
	v_mul_u32_u24_e32 v7, 0x889, v71
	v_lshrrev_b32_e32 v200, 17, v7
	v_fma_f64 v[103:104], v[5:6], v[24:25], v[3:4]
	v_mul_lo_u16_e32 v3, 60, v198
	v_sub_u16_e32 v199, v69, v3
	v_lshlrev_b32_e32 v3, 4, v199
	global_load_dwordx4 v[32:35], v3, s[2:3] offset:800
	s_waitcnt vmcnt(0)
	buffer_store_dword v32, off, s[36:39], 0 offset:1104 ; 4-byte Folded Spill
	s_nop 0
	buffer_store_dword v33, off, s[36:39], 0 offset:1108 ; 4-byte Folded Spill
	buffer_store_dword v34, off, s[36:39], 0 offset:1112 ; 4-byte Folded Spill
	;; [unrolled: 1-line block ×3, first 2 shown]
	ds_read_b128 v[3:6], v96 offset:49152
	s_waitcnt lgkmcnt(0)
	v_mul_f64 v[24:25], v[5:6], v[34:35]
	v_fma_f64 v[105:106], v[3:4], v[32:33], -v[24:25]
	v_mul_f64 v[3:4], v[3:4], v[34:35]
	v_fma_f64 v[107:108], v[5:6], v[32:33], v[3:4]
	v_mul_lo_u16_e32 v3, 60, v200
	v_sub_u16_e32 v201, v71, v3
	v_lshlrev_b32_e32 v3, 4, v201
	global_load_dwordx4 v[32:35], v3, s[2:3] offset:800
	s_waitcnt vmcnt(0)
	buffer_store_dword v32, off, s[36:39], 0 offset:1124 ; 4-byte Folded Spill
	s_nop 0
	buffer_store_dword v33, off, s[36:39], 0 offset:1128 ; 4-byte Folded Spill
	buffer_store_dword v34, off, s[36:39], 0 offset:1132 ; 4-byte Folded Spill
	buffer_store_dword v35, off, s[36:39], 0 offset:1136 ; 4-byte Folded Spill
	ds_read_b128 v[3:6], v96 offset:51200
	s_waitcnt lgkmcnt(0)
	v_mul_f64 v[24:25], v[5:6], v[34:35]
	v_fma_f64 v[109:110], v[3:4], v[32:33], -v[24:25]
	v_mul_f64 v[3:4], v[3:4], v[34:35]
	v_fma_f64 v[111:112], v[5:6], v[32:33], v[3:4]
	v_mul_u32_u24_e32 v6, 0x889, v73
	v_lshrrev_b32_e32 v202, 17, v6
	v_mul_lo_u16_e32 v3, 60, v202
	v_sub_u16_e32 v203, v73, v3
	v_lshlrev_b32_e32 v3, 4, v203
	global_load_dwordx4 v[32:35], v3, s[2:3] offset:800
	s_waitcnt vmcnt(0)
	buffer_store_dword v32, off, s[36:39], 0 offset:1140 ; 4-byte Folded Spill
	s_nop 0
	buffer_store_dword v33, off, s[36:39], 0 offset:1144 ; 4-byte Folded Spill
	buffer_store_dword v34, off, s[36:39], 0 offset:1148 ; 4-byte Folded Spill
	buffer_store_dword v35, off, s[36:39], 0 offset:1152 ; 4-byte Folded Spill
	ds_read_b128 v[24:27], v96 offset:53248
	v_mul_u32_u24_e32 v5, 0x889, v68
	v_lshrrev_b32_e32 v204, 17, v5
	s_waitcnt lgkmcnt(0)
	v_mul_f64 v[3:4], v[26:27], v[34:35]
	v_fma_f64 v[165:166], v[24:25], v[32:33], -v[3:4]
	v_mul_f64 v[3:4], v[24:25], v[34:35]
	v_fma_f64 v[167:168], v[26:27], v[32:33], v[3:4]
	v_mul_lo_u16_e32 v3, 60, v204
	v_sub_u16_e32 v205, v68, v3
	v_lshlrev_b32_e32 v3, 4, v205
	global_load_dwordx4 v[32:35], v3, s[2:3] offset:800
	s_waitcnt vmcnt(0)
	buffer_store_dword v32, off, s[36:39], 0 offset:1156 ; 4-byte Folded Spill
	s_nop 0
	buffer_store_dword v33, off, s[36:39], 0 offset:1160 ; 4-byte Folded Spill
	buffer_store_dword v34, off, s[36:39], 0 offset:1164 ; 4-byte Folded Spill
	;; [unrolled: 1-line block ×3, first 2 shown]
	ds_read_b128 v[24:27], v96 offset:55296
	s_waitcnt lgkmcnt(0)
	v_mul_f64 v[3:4], v[26:27], v[34:35]
	v_fma_f64 v[173:174], v[24:25], v[32:33], -v[3:4]
	v_mul_f64 v[3:4], v[24:25], v[34:35]
	v_fma_f64 v[175:176], v[26:27], v[32:33], v[3:4]
	v_mul_u32_u24_e32 v4, 0x889, v70
	v_lshrrev_b32_e32 v206, 17, v4
	v_mul_lo_u16_e32 v3, 60, v206
	v_sub_u16_e32 v207, v70, v3
	v_lshlrev_b32_e32 v3, 4, v207
	global_load_dwordx4 v[40:43], v3, s[2:3] offset:800
	s_waitcnt vmcnt(0)
	buffer_store_dword v40, off, s[36:39], 0 offset:1172 ; 4-byte Folded Spill
	s_nop 0
	buffer_store_dword v41, off, s[36:39], 0 offset:1176 ; 4-byte Folded Spill
	buffer_store_dword v42, off, s[36:39], 0 offset:1180 ; 4-byte Folded Spill
	;; [unrolled: 1-line block ×3, first 2 shown]
	ds_read_b128 v[24:27], v96 offset:57344
	v_mul_u32_u24_e32 v3, 0x889, v72
	v_lshrrev_b32_e32 v208, 17, v3
	s_waitcnt lgkmcnt(0)
	v_mul_f64 v[32:33], v[26:27], v[42:43]
	v_fma_f64 v[181:182], v[24:25], v[40:41], -v[32:33]
	v_mul_f64 v[24:25], v[24:25], v[42:43]
	v_fma_f64 v[183:184], v[26:27], v[40:41], v[24:25]
	v_mul_lo_u16_e32 v24, 60, v208
	v_sub_u16_e32 v209, v72, v24
	v_lshlrev_b32_e32 v24, 4, v209
	global_load_dwordx4 v[40:43], v24, s[2:3] offset:800
	s_waitcnt vmcnt(0)
	buffer_store_dword v40, off, s[36:39], 0 offset:1216 ; 4-byte Folded Spill
	s_nop 0
	buffer_store_dword v41, off, s[36:39], 0 offset:1220 ; 4-byte Folded Spill
	buffer_store_dword v42, off, s[36:39], 0 offset:1224 ; 4-byte Folded Spill
	;; [unrolled: 1-line block ×3, first 2 shown]
	ds_read_b128 v[24:27], v96 offset:59392
	ds_read_b128 v[78:81], v96 offset:6144
	;; [unrolled: 1-line block ×6, first 2 shown]
	s_waitcnt lgkmcnt(4)
	v_add_f64 v[82:83], v[78:79], -v[51:52]
	v_add_f64 v[84:85], v[80:81], -v[53:54]
	s_waitcnt lgkmcnt(3)
	v_add_f64 v[90:91], v[86:87], -v[55:56]
	v_add_f64 v[92:93], v[88:89], -v[57:58]
	;; [unrolled: 3-line block ×3, first 2 shown]
	ds_read_b128 v[137:140], v96 offset:16384
	ds_read_b128 v[145:148], v96 offset:18432
	s_waitcnt lgkmcnt(3)
	v_add_f64 v[125:126], v[121:122], -v[65:66]
	v_add_f64 v[127:128], v[123:124], -v[94:95]
	s_waitcnt lgkmcnt(2)
	v_add_f64 v[133:134], v[129:130], -v[97:98]
	v_add_f64 v[135:136], v[131:132], -v[99:100]
	ds_read_b128 v[153:156], v96 offset:20480
	ds_read_b128 v[161:164], v96 offset:22528
	v_fma_f64 v[78:79], v[78:79], 2.0, -v[82:83]
	v_fma_f64 v[80:81], v[80:81], 2.0, -v[84:85]
	s_waitcnt lgkmcnt(3)
	v_add_f64 v[141:142], v[137:138], -v[101:102]
	v_add_f64 v[143:144], v[139:140], -v[103:104]
	v_fma_f64 v[86:87], v[86:87], 2.0, -v[90:91]
	v_fma_f64 v[88:89], v[88:89], 2.0, -v[92:93]
	;; [unrolled: 1-line block ×4, first 2 shown]
	s_waitcnt lgkmcnt(2)
	v_add_f64 v[149:150], v[145:146], -v[105:106]
	v_add_f64 v[151:152], v[147:148], -v[107:108]
	ds_read_b128 v[169:172], v96 offset:24576
	ds_read_b128 v[177:180], v96 offset:26624
	;; [unrolled: 1-line block ×3, first 2 shown]
	buffer_store_dword v1, off, s[36:39], 0 offset:1260 ; 4-byte Folded Spill
	v_fma_f64 v[121:122], v[121:122], 2.0, -v[125:126]
	v_fma_f64 v[123:124], v[123:124], 2.0, -v[127:128]
	s_waitcnt lgkmcnt(4)
	v_add_f64 v[157:158], v[153:154], -v[109:110]
	v_add_f64 v[159:160], v[155:156], -v[111:112]
	v_fma_f64 v[129:130], v[129:130], 2.0, -v[133:134]
	v_fma_f64 v[131:132], v[131:132], 2.0, -v[135:136]
	s_waitcnt lgkmcnt(3)
	v_add_f64 v[165:166], v[161:162], -v[165:166]
	v_add_f64 v[167:168], v[163:164], -v[167:168]
	;; [unrolled: 5-line block ×4, first 2 shown]
	v_fma_f64 v[153:154], v[153:154], 2.0, -v[157:158]
	v_fma_f64 v[155:156], v[155:156], 2.0, -v[159:160]
	;; [unrolled: 1-line block ×8, first 2 shown]
	v_mul_f64 v[32:33], v[26:27], v[42:43]
	v_fma_f64 v[189:190], v[24:25], v[40:41], -v[32:33]
	v_mul_f64 v[24:25], v[24:25], v[42:43]
	ds_read_b128 v[32:35], v96 offset:2048
	s_waitcnt lgkmcnt(0)
	v_add_f64 v[36:37], v[32:33], -v[36:37]
	v_add_f64 v[38:39], v[34:35], -v[38:39]
	v_fma_f64 v[191:192], v[26:27], v[40:41], v[24:25]
	ds_read_b128 v[24:27], v96
	ds_read_b128 v[40:43], v96 offset:4096
	s_waitcnt vmcnt(0) lgkmcnt(0)
	s_barrier
	v_add_f64 v[28:29], v[24:25], -v[28:29]
	v_add_f64 v[30:31], v[26:27], -v[30:31]
	;; [unrolled: 1-line block ×4, first 2 shown]
	v_fma_f64 v[32:33], v[32:33], 2.0, -v[36:37]
	v_fma_f64 v[34:35], v[34:35], 2.0, -v[38:39]
	v_add_f64 v[189:190], v[185:186], -v[189:190]
	v_add_f64 v[191:192], v[187:188], -v[191:192]
	v_fma_f64 v[24:25], v[24:25], 2.0, -v[28:29]
	v_fma_f64 v[26:27], v[26:27], 2.0, -v[30:31]
	;; [unrolled: 1-line block ×4, first 2 shown]
	ds_write_b128 v1, v[24:27]
	ds_write_b128 v1, v[28:31] offset:960
	v_mul_u32_u24_e32 v1, 0x78, v16
	v_add_lshl_u32 v1, v1, v17, 4
	buffer_store_dword v1, off, s[36:39], 0 offset:1256 ; 4-byte Folded Spill
	ds_write_b128 v1, v[32:35]
	ds_write_b128 v1, v[36:39] offset:960
	v_mad_legacy_u16 v1, v18, s0, v19
	v_lshlrev_b32_e32 v1, 4, v1
	buffer_store_dword v1, off, s[36:39], 0 offset:1252 ; 4-byte Folded Spill
	ds_write_b128 v1, v[40:43]
	ds_write_b128 v1, v[44:47] offset:960
	v_mad_legacy_u16 v1, v20, s0, v21
	v_lshlrev_b32_e32 v1, 4, v1
	;; [unrolled: 5-line block ×3, first 2 shown]
	buffer_store_dword v1, off, s[36:39], 0 offset:1244 ; 4-byte Folded Spill
	ds_write_b128 v1, v[86:89]
	ds_write_b128 v1, v[90:93] offset:960
	buffer_store_dword v0, off, s[36:39], 0 offset:1240 ; 4-byte Folded Spill
	ds_write_b128 v0, v[113:116]
	ds_write_b128 v0, v[117:120] offset:960
	v_mad_legacy_u16 v0, v67, s0, v193
	v_lshlrev_b32_e32 v0, 4, v0
	buffer_store_dword v0, off, s[36:39], 0 offset:1236 ; 4-byte Folded Spill
	ds_write_b128 v0, v[121:124]
	ds_write_b128 v0, v[125:128] offset:960
	v_mad_legacy_u16 v0, v194, s0, v195
	v_lshlrev_b32_e32 v0, 4, v0
	;; [unrolled: 5-line block ×5, first 2 shown]
	v_fma_f64 v[185:186], v[185:186], 2.0, -v[189:190]
	v_fma_f64 v[187:188], v[187:188], 2.0, -v[191:192]
	buffer_store_dword v0, off, s[36:39], 0 offset:1204 ; 4-byte Folded Spill
	ds_write_b128 v0, v[153:156]
	ds_write_b128 v0, v[157:160] offset:960
	v_mad_legacy_u16 v0, v202, s0, v203
	v_lshlrev_b32_e32 v0, 4, v0
	buffer_store_dword v0, off, s[36:39], 0 offset:1200 ; 4-byte Folded Spill
	ds_write_b128 v0, v[161:164]
	ds_write_b128 v0, v[165:168] offset:960
	v_mad_legacy_u16 v0, v204, s0, v205
	v_lshlrev_b32_e32 v0, 4, v0
	buffer_store_dword v0, off, s[36:39], 0 offset:1196 ; 4-byte Folded Spill
	ds_write_b128 v0, v[169:172]
	ds_write_b128 v0, v[173:176] offset:960
	v_mad_legacy_u16 v0, v206, s0, v207
	v_lshlrev_b32_e32 v0, 4, v0
	buffer_store_dword v0, off, s[36:39], 0 offset:1192 ; 4-byte Folded Spill
	ds_write_b128 v0, v[177:180]
	ds_write_b128 v0, v[181:184] offset:960
	v_mad_legacy_u16 v0, v208, s0, v209
	v_lshlrev_b32_e32 v0, 4, v0
	buffer_store_dword v0, off, s[36:39], 0 offset:1188 ; 4-byte Folded Spill
	ds_write_b128 v0, v[185:188]
	ds_write_b128 v0, v[189:192] offset:960
	v_add_co_u32_e64 v0, s[0:1], s1, v253
	v_addc_co_u32_e64 v1, s[0:1], 0, -1, s[0:1]
	v_cndmask_b32_e64 v2, v1, 0, vcc
	v_cndmask_b32_e32 v1, v0, v253, vcc
	v_lshlrev_b64 v[16:17], 4, v[1:2]
	s_waitcnt lgkmcnt(0)
	v_add_co_u32_e32 v16, vcc, s2, v16
	v_addc_co_u32_e32 v17, vcc, v48, v17, vcc
	s_waitcnt vmcnt(0)
	s_barrier
	global_load_dwordx4 v[22:25], v[16:17], off offset:1760
	s_waitcnt vmcnt(0)
	buffer_store_dword v22, off, s[36:39], 0 offset:1264 ; 4-byte Folded Spill
	s_nop 0
	buffer_store_dword v23, off, s[36:39], 0 offset:1268 ; 4-byte Folded Spill
	buffer_store_dword v24, off, s[36:39], 0 offset:1272 ; 4-byte Folded Spill
	;; [unrolled: 1-line block ×3, first 2 shown]
	ds_read_b128 v[16:19], v96 offset:30720
	v_lshrrev_b16_e32 v2, 14, v10
	v_mul_lo_u16_e32 v0, 0x78, v2
	v_sub_u16_e32 v0, v9, v0
	v_and_b32_e32 v10, 0xff, v0
	v_lshlrev_b32_e32 v0, 4, v10
	v_lshrrev_b32_e32 v67, 17, v15
	v_lshrrev_b32_e32 v194, 17, v12
	;; [unrolled: 1-line block ×9, first 2 shown]
	s_movk_i32 s0, 0x77
	v_cmp_lt_u32_e32 vcc, s0, v253
	s_movk_i32 s0, 0xf0
	v_lshrrev_b32_e32 v15, 18, v15
	v_mul_lo_u16_e32 v15, 0xf0, v15
	v_sub_u16_e32 v15, v75, v15
	s_waitcnt lgkmcnt(0)
	v_mul_f64 v[20:21], v[18:19], v[24:25]
	v_fma_f64 v[27:28], v[16:17], v[22:23], -v[20:21]
	v_mul_f64 v[16:17], v[16:17], v[24:25]
	v_fma_f64 v[29:30], v[18:19], v[22:23], v[16:17]
	global_load_dwordx4 v[22:25], v0, s[2:3] offset:1760
	s_waitcnt vmcnt(0)
	buffer_store_dword v22, off, s[36:39], 0 offset:1280 ; 4-byte Folded Spill
	s_nop 0
	buffer_store_dword v23, off, s[36:39], 0 offset:1284 ; 4-byte Folded Spill
	buffer_store_dword v24, off, s[36:39], 0 offset:1288 ; 4-byte Folded Spill
	;; [unrolled: 1-line block ×3, first 2 shown]
	ds_read_b128 v[16:19], v96 offset:32768
	v_mul_u32_u24_e32 v0, 0x223, v50
	s_waitcnt lgkmcnt(0)
	v_mul_f64 v[20:21], v[18:19], v[24:25]
	v_fma_f64 v[35:36], v[16:17], v[22:23], -v[20:21]
	v_mul_f64 v[16:17], v[16:17], v[24:25]
	v_fma_f64 v[37:38], v[18:19], v[22:23], v[16:17]
	v_lshrrev_b32_e32 v17, 16, v0
	v_mul_lo_u16_e32 v0, 0x78, v17
	v_sub_u16_e32 v18, v50, v0
	v_lshlrev_b32_e32 v0, 4, v18
	global_load_dwordx4 v[31:34], v0, s[2:3] offset:1760
	s_waitcnt vmcnt(0)
	buffer_store_dword v31, off, s[36:39], 0 offset:1296 ; 4-byte Folded Spill
	s_nop 0
	buffer_store_dword v32, off, s[36:39], 0 offset:1300 ; 4-byte Folded Spill
	buffer_store_dword v33, off, s[36:39], 0 offset:1304 ; 4-byte Folded Spill
	;; [unrolled: 1-line block ×3, first 2 shown]
	ds_read_b128 v[19:22], v96 offset:34816
	v_mul_u32_u24_e32 v16, 0x223, v49
	s_waitcnt lgkmcnt(0)
	v_mul_f64 v[23:24], v[21:22], v[33:34]
	v_fma_f64 v[43:44], v[19:20], v[31:32], -v[23:24]
	v_mul_f64 v[19:20], v[19:20], v[33:34]
	v_fma_f64 v[45:46], v[21:22], v[31:32], v[19:20]
	v_lshrrev_b32_e32 v19, 16, v16
	v_mul_lo_u16_e32 v0, 0x78, v19
	v_sub_u16_e32 v20, v49, v0
	v_lshlrev_b32_e32 v0, 4, v20
	global_load_dwordx4 v[31:34], v0, s[2:3] offset:1760
	s_waitcnt vmcnt(0)
	buffer_store_dword v31, off, s[36:39], 0 offset:1312 ; 4-byte Folded Spill
	s_nop 0
	buffer_store_dword v32, off, s[36:39], 0 offset:1316 ; 4-byte Folded Spill
	buffer_store_dword v33, off, s[36:39], 0 offset:1320 ; 4-byte Folded Spill
	buffer_store_dword v34, off, s[36:39], 0 offset:1324 ; 4-byte Folded Spill
	ds_read_b128 v[21:24], v96 offset:36864
	s_waitcnt lgkmcnt(0)
	v_mul_f64 v[25:26], v[23:24], v[33:34]
	v_fma_f64 v[50:51], v[21:22], v[31:32], -v[25:26]
	v_mul_f64 v[21:22], v[21:22], v[33:34]
	v_fma_f64 v[52:53], v[23:24], v[31:32], v[21:22]
	v_lshrrev_b32_e32 v21, 17, v13
	v_mul_lo_u16_e32 v0, 0x78, v21
	v_sub_u16_e32 v22, v76, v0
	v_lshlrev_b32_e32 v0, 4, v22
	global_load_dwordx4 v[39:42], v0, s[2:3] offset:1760
	s_waitcnt vmcnt(0)
	buffer_store_dword v39, off, s[36:39], 0 offset:1328 ; 4-byte Folded Spill
	s_nop 0
	buffer_store_dword v40, off, s[36:39], 0 offset:1332 ; 4-byte Folded Spill
	buffer_store_dword v41, off, s[36:39], 0 offset:1336 ; 4-byte Folded Spill
	;; [unrolled: 1-line block ×3, first 2 shown]
	ds_read_b128 v[23:26], v96 offset:38912
	v_lshrrev_b32_e32 v0, 17, v14
	s_waitcnt lgkmcnt(0)
	v_mul_f64 v[31:32], v[25:26], v[41:42]
	v_fma_f64 v[54:55], v[23:24], v[39:40], -v[31:32]
	v_mul_f64 v[23:24], v[23:24], v[41:42]
	v_fma_f64 v[56:57], v[25:26], v[39:40], v[23:24]
	v_mul_lo_u16_e32 v23, 0x78, v0
	v_sub_u16_e32 v47, v77, v23
	v_lshlrev_b32_e32 v23, 4, v47
	global_load_dwordx4 v[39:42], v23, s[2:3] offset:1760
	s_waitcnt vmcnt(0)
	buffer_store_dword v39, off, s[36:39], 0 offset:1344 ; 4-byte Folded Spill
	s_nop 0
	buffer_store_dword v40, off, s[36:39], 0 offset:1348 ; 4-byte Folded Spill
	buffer_store_dword v41, off, s[36:39], 0 offset:1352 ; 4-byte Folded Spill
	;; [unrolled: 1-line block ×3, first 2 shown]
	ds_read_b128 v[23:26], v96 offset:40960
	v_mad_legacy_u16 v0, v0, s0, v47
	v_lshlrev_b32_e32 v0, 4, v0
	s_waitcnt lgkmcnt(0)
	v_mul_f64 v[31:32], v[25:26], v[41:42]
	v_fma_f64 v[58:59], v[23:24], v[39:40], -v[31:32]
	v_mul_f64 v[23:24], v[23:24], v[41:42]
	v_fma_f64 v[60:61], v[25:26], v[39:40], v[23:24]
	v_mul_lo_u16_e32 v23, 0x78, v67
	v_sub_u16_e32 v193, v75, v23
	v_lshlrev_b32_e32 v23, 4, v193
	global_load_dwordx4 v[39:42], v23, s[2:3] offset:1760
	s_waitcnt vmcnt(0)
	buffer_store_dword v39, off, s[36:39], 0 offset:1360 ; 4-byte Folded Spill
	s_nop 0
	buffer_store_dword v40, off, s[36:39], 0 offset:1364 ; 4-byte Folded Spill
	buffer_store_dword v41, off, s[36:39], 0 offset:1368 ; 4-byte Folded Spill
	buffer_store_dword v42, off, s[36:39], 0 offset:1372 ; 4-byte Folded Spill
	ds_read_b128 v[23:26], v96 offset:43008
	s_waitcnt lgkmcnt(0)
	v_mul_f64 v[31:32], v[25:26], v[41:42]
	v_fma_f64 v[63:64], v[23:24], v[39:40], -v[31:32]
	v_mul_f64 v[23:24], v[23:24], v[41:42]
	v_fma_f64 v[65:66], v[25:26], v[39:40], v[23:24]
	v_mul_lo_u16_e32 v23, 0x78, v194
	v_sub_u16_e32 v195, v62, v23
	v_lshlrev_b32_e32 v23, 4, v195
	global_load_dwordx4 v[39:42], v23, s[2:3] offset:1760
	s_waitcnt vmcnt(0)
	buffer_store_dword v39, off, s[36:39], 0 offset:1376 ; 4-byte Folded Spill
	s_nop 0
	buffer_store_dword v40, off, s[36:39], 0 offset:1380 ; 4-byte Folded Spill
	buffer_store_dword v41, off, s[36:39], 0 offset:1384 ; 4-byte Folded Spill
	buffer_store_dword v42, off, s[36:39], 0 offset:1388 ; 4-byte Folded Spill
	ds_read_b128 v[23:26], v96 offset:45056
	;; [unrolled: 16-line block ×9, first 2 shown]
	ds_read_b128 v[78:81], v96 offset:6144
	ds_read_b128 v[86:89], v96 offset:8192
	;; [unrolled: 1-line block ×5, first 2 shown]
	s_waitcnt lgkmcnt(4)
	v_add_f64 v[82:83], v[78:79], -v[50:51]
	v_add_f64 v[84:85], v[80:81], -v[52:53]
	s_waitcnt lgkmcnt(3)
	v_add_f64 v[90:91], v[86:87], -v[54:55]
	v_add_f64 v[92:93], v[88:89], -v[56:57]
	s_waitcnt lgkmcnt(2)
	v_add_f64 v[117:118], v[113:114], -v[58:59]
	v_add_f64 v[119:120], v[115:116], -v[60:61]
	ds_read_b128 v[137:140], v96 offset:16384
	ds_read_b128 v[145:148], v96 offset:18432
	s_waitcnt lgkmcnt(3)
	v_add_f64 v[125:126], v[121:122], -v[63:64]
	v_add_f64 v[127:128], v[123:124], -v[65:66]
	s_waitcnt lgkmcnt(2)
	v_add_f64 v[133:134], v[129:130], -v[94:95]
	v_add_f64 v[135:136], v[131:132], -v[97:98]
	ds_read_b128 v[153:156], v96 offset:20480
	ds_read_b128 v[161:164], v96 offset:22528
	v_mov_b32_e32 v50, 0xf0
	v_fma_f64 v[78:79], v[78:79], 2.0, -v[82:83]
	v_fma_f64 v[80:81], v[80:81], 2.0, -v[84:85]
	s_waitcnt lgkmcnt(3)
	v_add_f64 v[141:142], v[137:138], -v[99:100]
	v_add_f64 v[143:144], v[139:140], -v[101:102]
	v_cndmask_b32_e32 v50, 0, v50, vcc
	v_add_lshl_u32 v1, v1, v50, 4
	v_fma_f64 v[86:87], v[86:87], 2.0, -v[90:91]
	v_fma_f64 v[88:89], v[88:89], 2.0, -v[92:93]
	v_fma_f64 v[113:114], v[113:114], 2.0, -v[117:118]
	v_fma_f64 v[115:116], v[115:116], 2.0, -v[119:120]
	s_waitcnt lgkmcnt(2)
	v_add_f64 v[149:150], v[145:146], -v[103:104]
	v_add_f64 v[151:152], v[147:148], -v[105:106]
	ds_read_b128 v[169:172], v96 offset:24576
	ds_read_b128 v[177:180], v96 offset:26624
	;; [unrolled: 1-line block ×3, first 2 shown]
	buffer_store_dword v1, off, s[36:39], 0 offset:1560 ; 4-byte Folded Spill
	v_fma_f64 v[121:122], v[121:122], 2.0, -v[125:126]
	v_fma_f64 v[123:124], v[123:124], 2.0, -v[127:128]
	s_waitcnt lgkmcnt(4)
	v_add_f64 v[157:158], v[153:154], -v[107:108]
	v_add_f64 v[159:160], v[155:156], -v[109:110]
	v_fma_f64 v[129:130], v[129:130], 2.0, -v[133:134]
	v_fma_f64 v[131:132], v[131:132], 2.0, -v[135:136]
	s_waitcnt lgkmcnt(3)
	v_add_f64 v[165:166], v[161:162], -v[111:112]
	v_add_f64 v[167:168], v[163:164], -v[167:168]
	;; [unrolled: 5-line block ×4, first 2 shown]
	v_fma_f64 v[153:154], v[153:154], 2.0, -v[157:158]
	v_fma_f64 v[155:156], v[155:156], 2.0, -v[159:160]
	;; [unrolled: 1-line block ×8, first 2 shown]
	v_mov_b32_e32 v50, 0
	v_mul_f64 v[31:32], v[25:26], v[41:42]
	v_fma_f64 v[189:190], v[23:24], v[39:40], -v[31:32]
	v_mul_f64 v[23:24], v[23:24], v[41:42]
	ds_read_b128 v[31:34], v96 offset:2048
	s_waitcnt lgkmcnt(0)
	v_add_f64 v[35:36], v[31:32], -v[35:36]
	v_add_f64 v[37:38], v[33:34], -v[37:38]
	v_fma_f64 v[191:192], v[25:26], v[39:40], v[23:24]
	ds_read_b128 v[23:26], v96
	ds_read_b128 v[39:42], v96 offset:4096
	s_waitcnt vmcnt(0) lgkmcnt(0)
	s_barrier
	v_add_f64 v[27:28], v[23:24], -v[27:28]
	v_add_f64 v[29:30], v[25:26], -v[29:30]
	v_add_f64 v[43:44], v[39:40], -v[43:44]
	v_add_f64 v[45:46], v[41:42], -v[45:46]
	v_fma_f64 v[31:32], v[31:32], 2.0, -v[35:36]
	v_fma_f64 v[33:34], v[33:34], 2.0, -v[37:38]
	v_add_f64 v[189:190], v[185:186], -v[189:190]
	v_add_f64 v[191:192], v[187:188], -v[191:192]
	v_fma_f64 v[23:24], v[23:24], 2.0, -v[27:28]
	v_fma_f64 v[25:26], v[25:26], 2.0, -v[29:30]
	;; [unrolled: 1-line block ×4, first 2 shown]
	ds_write_b128 v1, v[23:26]
	ds_write_b128 v1, v[27:30] offset:1920
	v_mul_u32_u24_e32 v1, 0xf0, v2
	v_add_lshl_u32 v1, v1, v10, 4
	buffer_store_dword v1, off, s[36:39], 0 offset:1556 ; 4-byte Folded Spill
	ds_write_b128 v1, v[31:34]
	ds_write_b128 v1, v[35:38] offset:1920
	v_mad_legacy_u16 v1, v17, s0, v18
	v_lshlrev_b32_e32 v1, 4, v1
	buffer_store_dword v1, off, s[36:39], 0 offset:1552 ; 4-byte Folded Spill
	ds_write_b128 v1, v[39:42]
	ds_write_b128 v1, v[43:46] offset:1920
	v_mad_legacy_u16 v1, v19, s0, v20
	v_lshlrev_b32_e32 v1, 4, v1
	;; [unrolled: 5-line block ×3, first 2 shown]
	buffer_store_dword v1, off, s[36:39], 0 offset:1544 ; 4-byte Folded Spill
	ds_write_b128 v1, v[86:89]
	ds_write_b128 v1, v[90:93] offset:1920
	buffer_store_dword v0, off, s[36:39], 0 offset:1540 ; 4-byte Folded Spill
	ds_write_b128 v0, v[113:116]
	ds_write_b128 v0, v[117:120] offset:1920
	v_mad_legacy_u16 v0, v67, s0, v193
	v_lshlrev_b32_e32 v0, 4, v0
	buffer_store_dword v0, off, s[36:39], 0 offset:1536 ; 4-byte Folded Spill
	ds_write_b128 v0, v[121:124]
	ds_write_b128 v0, v[125:128] offset:1920
	v_mad_legacy_u16 v0, v194, s0, v195
	v_lshlrev_b32_e32 v0, 4, v0
	buffer_store_dword v0, off, s[36:39], 0 offset:1532 ; 4-byte Folded Spill
	ds_write_b128 v0, v[129:132]
	ds_write_b128 v0, v[133:136] offset:1920
	v_mad_legacy_u16 v0, v196, s0, v197
	v_lshlrev_b32_e32 v0, 4, v0
	buffer_store_dword v0, off, s[36:39], 0 offset:1528 ; 4-byte Folded Spill
	ds_write_b128 v0, v[137:140]
	ds_write_b128 v0, v[141:144] offset:1920
	v_mad_legacy_u16 v0, v198, s0, v199
	v_lshlrev_b32_e32 v0, 4, v0
	buffer_store_dword v0, off, s[36:39], 0 offset:1524 ; 4-byte Folded Spill
	ds_write_b128 v0, v[145:148]
	ds_write_b128 v0, v[149:152] offset:1920
	v_mad_legacy_u16 v0, v200, s0, v201
	v_lshlrev_b32_e32 v0, 4, v0
	v_fma_f64 v[185:186], v[185:186], 2.0, -v[189:190]
	v_fma_f64 v[187:188], v[187:188], 2.0, -v[191:192]
	buffer_store_dword v0, off, s[36:39], 0 offset:1520 ; 4-byte Folded Spill
	ds_write_b128 v0, v[153:156]
	ds_write_b128 v0, v[157:160] offset:1920
	v_mad_legacy_u16 v0, v202, s0, v203
	v_lshlrev_b32_e32 v0, 4, v0
	buffer_store_dword v0, off, s[36:39], 0 offset:1500 ; 4-byte Folded Spill
	ds_write_b128 v0, v[161:164]
	ds_write_b128 v0, v[165:168] offset:1920
	v_mad_legacy_u16 v0, v204, s0, v205
	v_lshlrev_b32_e32 v0, 4, v0
	;; [unrolled: 5-line block ×4, first 2 shown]
	buffer_store_dword v0, off, s[36:39], 0 offset:1488 ; 4-byte Folded Spill
	ds_write_b128 v0, v[185:188]
	ds_write_b128 v0, v[189:192] offset:1920
	s_waitcnt vmcnt(0) lgkmcnt(0)
	s_barrier
	global_load_dwordx4 v[25:28], v96, s[2:3] offset:3680
	ds_read_b128 v[17:20], v96 offset:30720
	s_waitcnt vmcnt(0)
	buffer_store_dword v25, off, s[36:39], 0 offset:1564 ; 4-byte Folded Spill
	s_nop 0
	buffer_store_dword v26, off, s[36:39], 0 offset:1568 ; 4-byte Folded Spill
	buffer_store_dword v27, off, s[36:39], 0 offset:1572 ; 4-byte Folded Spill
	;; [unrolled: 1-line block ×3, first 2 shown]
	v_mov_b32_e32 v10, v50
	s_mov_b64 s[0:1], 0xf0
	v_cmp_gt_u64_e32 vcc, s[0:1], v[9:10]
	v_lshlrev_b32_e32 v190, 4, v15
	v_lshrrev_b32_e32 v15, 18, v12
	v_lshrrev_b32_e32 v67, 19, v8
	;; [unrolled: 1-line block ×5, first 2 shown]
	v_mul_lo_u16_e32 v4, 0x1e0, v4
	v_sub_u16_e32 v4, v70, v4
	s_waitcnt lgkmcnt(0)
	v_mul_f64 v[0:1], v[19:20], v[27:28]
	v_fma_f64 v[21:22], v[17:18], v[25:26], -v[0:1]
	v_mul_f64 v[0:1], v[17:18], v[27:28]
	v_fma_f64 v[23:24], v[19:20], v[25:26], v[0:1]
	v_add_co_u32_e64 v0, s[0:1], s33, v253
	v_addc_co_u32_e64 v2, s[0:1], 0, -1, s[0:1]
	v_cndmask_b32_e32 v1, v0, v9, vcc
	v_cndmask_b32_e64 v2, v2, 0, vcc
	v_lshlrev_b64 v[17:18], 4, v[1:2]
	v_lshrrev_b32_e32 v2, 17, v16
	v_add_co_u32_e32 v17, vcc, s2, v17
	v_addc_co_u32_e32 v18, vcc, v48, v18, vcc
	global_load_dwordx4 v[31:34], v[17:18], off offset:3680
	s_waitcnt vmcnt(0)
	buffer_store_dword v31, off, s[36:39], 0 offset:1580 ; 4-byte Folded Spill
	s_nop 0
	buffer_store_dword v32, off, s[36:39], 0 offset:1584 ; 4-byte Folded Spill
	buffer_store_dword v33, off, s[36:39], 0 offset:1588 ; 4-byte Folded Spill
	;; [unrolled: 1-line block ×3, first 2 shown]
	ds_read_b128 v[17:20], v96 offset:32768
	v_mul_lo_u16_e32 v0, 0xf0, v2
	v_sub_u16_e32 v16, v49, v0
	v_lshlrev_b32_e32 v0, 4, v16
	s_mov_b64 s[0:1], 0xef
	v_cmp_lt_u64_e32 vcc, s[0:1], v[9:10]
	v_mov_b32_e32 v9, 0x1e0
	v_cndmask_b32_e32 v9, 0, v9, vcc
	v_add_lshl_u32 v1, v9, v1, 4
	s_movk_i32 s0, 0x1e0
	s_movk_i32 s33, 0xffa0
	s_waitcnt lgkmcnt(0)
	v_mul_f64 v[25:26], v[19:20], v[33:34]
	v_fma_f64 v[29:30], v[17:18], v[31:32], -v[25:26]
	v_mul_f64 v[17:18], v[17:18], v[33:34]
	global_load_dwordx4 v[33:36], v96, s[2:3] offset:3936
	s_waitcnt vmcnt(0)
	buffer_store_dword v33, off, s[36:39], 0 offset:1596 ; 4-byte Folded Spill
	s_nop 0
	buffer_store_dword v34, off, s[36:39], 0 offset:1600 ; 4-byte Folded Spill
	buffer_store_dword v35, off, s[36:39], 0 offset:1604 ; 4-byte Folded Spill
	;; [unrolled: 1-line block ×3, first 2 shown]
	v_fma_f64 v[31:32], v[19:20], v[31:32], v[17:18]
	ds_read_b128 v[17:20], v96 offset:34816
	s_waitcnt lgkmcnt(0)
	v_mul_f64 v[25:26], v[19:20], v[35:36]
	v_fma_f64 v[37:38], v[17:18], v[33:34], -v[25:26]
	v_mul_f64 v[17:18], v[17:18], v[35:36]
	v_fma_f64 v[39:40], v[19:20], v[33:34], v[17:18]
	global_load_dwordx4 v[33:36], v0, s[2:3] offset:3680
	s_waitcnt vmcnt(0)
	buffer_store_dword v33, off, s[36:39], 0 offset:1612 ; 4-byte Folded Spill
	s_nop 0
	buffer_store_dword v34, off, s[36:39], 0 offset:1616 ; 4-byte Folded Spill
	buffer_store_dword v35, off, s[36:39], 0 offset:1620 ; 4-byte Folded Spill
	;; [unrolled: 1-line block ×3, first 2 shown]
	ds_read_b128 v[17:20], v96 offset:36864
	v_lshrrev_b32_e32 v0, 18, v13
	v_mul_lo_u16_e32 v0, 0xf0, v0
	v_sub_u16_e32 v0, v76, v0
	v_lshlrev_b32_e32 v189, 4, v0
	v_lshrrev_b32_e32 v0, 18, v14
	v_mul_lo_u16_e32 v13, 0xf0, v0
	v_sub_u16_e32 v47, v77, v13
	v_lshlrev_b32_e32 v13, 4, v47
	v_mad_legacy_u16 v0, v0, s0, v47
	v_lshlrev_b32_e32 v0, 4, v0
	s_waitcnt lgkmcnt(0)
	v_mul_f64 v[25:26], v[19:20], v[35:36]
	v_fma_f64 v[45:46], v[17:18], v[33:34], -v[25:26]
	v_mul_f64 v[17:18], v[17:18], v[35:36]
	v_fma_f64 v[51:52], v[19:20], v[33:34], v[17:18]
	global_load_dwordx4 v[33:36], v189, s[2:3] offset:3680
	s_waitcnt vmcnt(0)
	buffer_store_dword v33, off, s[36:39], 0 offset:1628 ; 4-byte Folded Spill
	s_nop 0
	buffer_store_dword v34, off, s[36:39], 0 offset:1632 ; 4-byte Folded Spill
	buffer_store_dword v35, off, s[36:39], 0 offset:1636 ; 4-byte Folded Spill
	;; [unrolled: 1-line block ×3, first 2 shown]
	ds_read_b128 v[17:20], v96 offset:38912
	s_waitcnt lgkmcnt(0)
	v_mul_f64 v[25:26], v[19:20], v[35:36]
	v_fma_f64 v[53:54], v[17:18], v[33:34], -v[25:26]
	global_load_dwordx4 v[25:28], v13, s[2:3] offset:3680
	v_mul_f64 v[17:18], v[17:18], v[35:36]
	s_waitcnt vmcnt(0)
	buffer_store_dword v25, off, s[36:39], 0 offset:1644 ; 4-byte Folded Spill
	s_nop 0
	buffer_store_dword v26, off, s[36:39], 0 offset:1648 ; 4-byte Folded Spill
	buffer_store_dword v27, off, s[36:39], 0 offset:1652 ; 4-byte Folded Spill
	;; [unrolled: 1-line block ×3, first 2 shown]
	v_fma_f64 v[55:56], v[19:20], v[33:34], v[17:18]
	global_load_dwordx4 v[33:36], v190, s[2:3] offset:3680
	ds_read_b128 v[17:20], v96 offset:40960
	s_waitcnt vmcnt(0)
	buffer_store_dword v33, off, s[36:39], 0 offset:1660 ; 4-byte Folded Spill
	s_nop 0
	buffer_store_dword v34, off, s[36:39], 0 offset:1664 ; 4-byte Folded Spill
	buffer_store_dword v35, off, s[36:39], 0 offset:1668 ; 4-byte Folded Spill
	;; [unrolled: 1-line block ×3, first 2 shown]
	s_waitcnt lgkmcnt(0)
	v_mul_f64 v[13:14], v[19:20], v[27:28]
	v_fma_f64 v[13:14], v[17:18], v[25:26], -v[13:14]
	v_mul_f64 v[17:18], v[17:18], v[27:28]
	v_fma_f64 v[57:58], v[19:20], v[25:26], v[17:18]
	ds_read_b128 v[17:20], v96 offset:43008
	s_waitcnt lgkmcnt(0)
	v_mul_f64 v[25:26], v[19:20], v[35:36]
	v_fma_f64 v[59:60], v[17:18], v[33:34], -v[25:26]
	v_mul_f64 v[17:18], v[17:18], v[35:36]
	v_fma_f64 v[63:64], v[19:20], v[33:34], v[17:18]
	v_mul_lo_u16_e32 v17, 0xf0, v15
	v_sub_u16_e32 v61, v62, v17
	v_lshlrev_b32_e32 v17, 4, v61
	global_load_dwordx4 v[33:36], v17, s[2:3] offset:3680
	s_waitcnt vmcnt(0)
	buffer_store_dword v33, off, s[36:39], 0 offset:1676 ; 4-byte Folded Spill
	s_nop 0
	buffer_store_dword v34, off, s[36:39], 0 offset:1680 ; 4-byte Folded Spill
	buffer_store_dword v35, off, s[36:39], 0 offset:1684 ; 4-byte Folded Spill
	buffer_store_dword v36, off, s[36:39], 0 offset:1688 ; 4-byte Folded Spill
	ds_read_b128 v[17:20], v96 offset:45056
	s_waitcnt lgkmcnt(0)
	v_mul_f64 v[25:26], v[19:20], v[35:36]
	v_fma_f64 v[65:66], v[17:18], v[33:34], -v[25:26]
	v_mul_f64 v[17:18], v[17:18], v[35:36]
	v_fma_f64 v[97:98], v[19:20], v[33:34], v[17:18]
	v_lshrrev_b32_e32 v17, 19, v11
	v_mul_lo_u16_e32 v17, 0xf0, v17
	v_sub_u16_e32 v17, v74, v17
	v_lshlrev_b32_e32 v191, 4, v17
	global_load_dwordx4 v[33:36], v191, s[2:3] offset:3680
	s_waitcnt vmcnt(0)
	buffer_store_dword v33, off, s[36:39], 0 offset:1692 ; 4-byte Folded Spill
	s_nop 0
	buffer_store_dword v34, off, s[36:39], 0 offset:1696 ; 4-byte Folded Spill
	buffer_store_dword v35, off, s[36:39], 0 offset:1700 ; 4-byte Folded Spill
	buffer_store_dword v36, off, s[36:39], 0 offset:1704 ; 4-byte Folded Spill
	ds_read_b128 v[17:20], v96 offset:47104
	s_waitcnt lgkmcnt(0)
	v_mul_f64 v[25:26], v[19:20], v[35:36]
	v_fma_f64 v[99:100], v[17:18], v[33:34], -v[25:26]
	v_mul_f64 v[17:18], v[17:18], v[35:36]
	v_fma_f64 v[101:102], v[19:20], v[33:34], v[17:18]
	v_mul_lo_u16_e32 v17, 0xf0, v67
	v_sub_u16_e32 v95, v69, v17
	v_lshlrev_b32_e32 v17, 4, v95
	global_load_dwordx4 v[33:36], v17, s[2:3] offset:3680
	s_waitcnt vmcnt(0)
	buffer_store_dword v33, off, s[36:39], 0 offset:1708 ; 4-byte Folded Spill
	s_nop 0
	buffer_store_dword v34, off, s[36:39], 0 offset:1712 ; 4-byte Folded Spill
	buffer_store_dword v35, off, s[36:39], 0 offset:1716 ; 4-byte Folded Spill
	buffer_store_dword v36, off, s[36:39], 0 offset:1720 ; 4-byte Folded Spill
	ds_read_b128 v[17:20], v96 offset:49152
	s_waitcnt lgkmcnt(0)
	v_mul_f64 v[25:26], v[19:20], v[35:36]
	v_fma_f64 v[103:104], v[17:18], v[33:34], -v[25:26]
	v_mul_f64 v[17:18], v[17:18], v[35:36]
	v_fma_f64 v[105:106], v[19:20], v[33:34], v[17:18]
	v_lshrrev_b32_e32 v17, 19, v7
	v_mul_lo_u16_e32 v17, 0xf0, v17
	v_sub_u16_e32 v17, v71, v17
	v_lshlrev_b32_e32 v192, 4, v17
	global_load_dwordx4 v[33:36], v192, s[2:3] offset:3680
	s_waitcnt vmcnt(0)
	buffer_store_dword v33, off, s[36:39], 0 offset:1724 ; 4-byte Folded Spill
	s_nop 0
	buffer_store_dword v34, off, s[36:39], 0 offset:1728 ; 4-byte Folded Spill
	buffer_store_dword v35, off, s[36:39], 0 offset:1732 ; 4-byte Folded Spill
	buffer_store_dword v36, off, s[36:39], 0 offset:1736 ; 4-byte Folded Spill
	;; [unrolled: 33-line block ×3, first 2 shown]
	ds_read_b128 v[17:20], v96 offset:55296
	v_lshrrev_b32_e32 v5, 20, v5
	v_mul_lo_u16_e32 v5, 0x1e0, v5
	v_sub_u16_e32 v5, v68, v5
	s_waitcnt lgkmcnt(0)
	v_mul_f64 v[25:26], v[19:20], v[35:36]
	v_fma_f64 v[165:166], v[17:18], v[33:34], -v[25:26]
	v_mul_f64 v[17:18], v[17:18], v[35:36]
	v_fma_f64 v[167:168], v[19:20], v[33:34], v[17:18]
	v_mul_lo_u16_e32 v17, 0xf0, v187
	v_sub_u16_e32 v188, v70, v17
	v_lshlrev_b32_e32 v17, 4, v188
	global_load_dwordx4 v[33:36], v17, s[2:3] offset:3680
	s_waitcnt vmcnt(0)
	buffer_store_dword v33, off, s[36:39], 0 offset:1784 ; 4-byte Folded Spill
	s_nop 0
	buffer_store_dword v34, off, s[36:39], 0 offset:1788 ; 4-byte Folded Spill
	buffer_store_dword v35, off, s[36:39], 0 offset:1792 ; 4-byte Folded Spill
	;; [unrolled: 1-line block ×3, first 2 shown]
	ds_read_b128 v[17:20], v96 offset:57344
	s_waitcnt lgkmcnt(0)
	v_mul_f64 v[25:26], v[19:20], v[35:36]
	v_fma_f64 v[173:174], v[17:18], v[33:34], -v[25:26]
	v_mul_f64 v[17:18], v[17:18], v[35:36]
	v_fma_f64 v[175:176], v[19:20], v[33:34], v[17:18]
	v_lshrrev_b32_e32 v17, 19, v3
	v_mul_lo_u16_e32 v17, 0xf0, v17
	v_sub_u16_e32 v17, v72, v17
	v_lshlrev_b32_e32 v194, 4, v17
	global_load_dwordx4 v[33:36], v194, s[2:3] offset:3680
	s_waitcnt vmcnt(0)
	buffer_store_dword v33, off, s[36:39], 0 offset:1820 ; 4-byte Folded Spill
	s_nop 0
	buffer_store_dword v34, off, s[36:39], 0 offset:1824 ; 4-byte Folded Spill
	buffer_store_dword v35, off, s[36:39], 0 offset:1828 ; 4-byte Folded Spill
	;; [unrolled: 1-line block ×3, first 2 shown]
	ds_read_b128 v[17:20], v96 offset:59392
	ds_read_b128 v[41:44], v96 offset:6144
	;; [unrolled: 1-line block ×8, first 2 shown]
	s_waitcnt lgkmcnt(6)
	v_add_f64 v[75:76], v[41:42], -v[45:46]
	v_add_f64 v[77:78], v[43:44], -v[51:52]
	s_waitcnt lgkmcnt(5)
	v_add_f64 v[83:84], v[79:80], -v[53:54]
	v_add_f64 v[85:86], v[81:82], -v[55:56]
	;; [unrolled: 3-line block ×3, first 2 shown]
	ds_read_b128 v[145:148], v96 offset:20480
	ds_read_b128 v[153:156], v96 offset:22528
	s_waitcnt lgkmcnt(5)
	v_add_f64 v[117:118], v[113:114], -v[59:60]
	v_add_f64 v[119:120], v[115:116], -v[63:64]
	s_waitcnt lgkmcnt(4)
	v_add_f64 v[125:126], v[121:122], -v[65:66]
	v_add_f64 v[127:128], v[123:124], -v[97:98]
	ds_read_b128 v[161:164], v96 offset:24576
	ds_read_b128 v[169:172], v96 offset:26624
	;; [unrolled: 1-line block ×3, first 2 shown]
	s_waitcnt lgkmcnt(6)
	v_add_f64 v[133:134], v[129:130], -v[99:100]
	v_add_f64 v[135:136], v[131:132], -v[101:102]
	s_waitcnt lgkmcnt(5)
	v_add_f64 v[141:142], v[137:138], -v[103:104]
	v_add_f64 v[143:144], v[139:140], -v[105:106]
	;; [unrolled: 3-line block ×4, first 2 shown]
	v_fma_f64 v[41:42], v[41:42], 2.0, -v[75:76]
	v_fma_f64 v[43:44], v[43:44], 2.0, -v[77:78]
	;; [unrolled: 1-line block ×6, first 2 shown]
	s_waitcnt lgkmcnt(2)
	v_add_f64 v[165:166], v[161:162], -v[165:166]
	v_add_f64 v[167:168], v[163:164], -v[167:168]
	s_waitcnt lgkmcnt(1)
	v_add_f64 v[173:174], v[169:170], -v[173:174]
	v_add_f64 v[175:176], v[171:172], -v[175:176]
	v_fma_f64 v[113:114], v[113:114], 2.0, -v[117:118]
	v_fma_f64 v[115:116], v[115:116], 2.0, -v[119:120]
	;; [unrolled: 1-line block ×16, first 2 shown]
	v_add_co_u32_e32 v59, vcc, s2, v96
	s_movk_i32 s3, 0x1000
	v_lshrrev_b32_e32 v3, 20, v3
	v_mul_lo_u16_e32 v3, 0x1e0, v3
	v_sub_u16_e32 v3, v72, v3
	v_mul_f64 v[25:26], v[19:20], v[35:36]
	v_fma_f64 v[181:182], v[17:18], v[33:34], -v[25:26]
	v_mul_f64 v[17:18], v[17:18], v[35:36]
	ds_read_b128 v[25:28], v96 offset:2048
	s_waitcnt lgkmcnt(0)
	v_add_f64 v[29:30], v[25:26], -v[29:30]
	v_add_f64 v[31:32], v[27:28], -v[31:32]
	v_fma_f64 v[183:184], v[19:20], v[33:34], v[17:18]
	ds_read_b128 v[17:20], v96
	ds_read_b128 v[33:36], v96 offset:4096
	v_add_f64 v[181:182], v[177:178], -v[181:182]
	s_waitcnt vmcnt(0) lgkmcnt(0)
	s_barrier
	v_add_f64 v[21:22], v[17:18], -v[21:22]
	v_add_f64 v[23:24], v[19:20], -v[23:24]
	;; [unrolled: 1-line block ×4, first 2 shown]
	v_fma_f64 v[25:26], v[25:26], 2.0, -v[29:30]
	v_fma_f64 v[27:28], v[27:28], 2.0, -v[31:32]
	v_add_f64 v[183:184], v[179:180], -v[183:184]
	v_fma_f64 v[17:18], v[17:18], 2.0, -v[21:22]
	v_fma_f64 v[19:20], v[19:20], 2.0, -v[23:24]
	;; [unrolled: 1-line block ×4, first 2 shown]
	ds_write_b128 v96, v[17:20]
	ds_write_b128 v96, v[21:24] offset:3840
	buffer_store_dword v1, off, s[36:39], 0 offset:1852 ; 4-byte Folded Spill
	ds_write_b128 v1, v[25:28]
	ds_write_b128 v1, v[29:32] offset:3840
	ds_write_b128 v96, v[33:36] offset:7936
	;; [unrolled: 1-line block ×3, first 2 shown]
	v_mad_legacy_u16 v1, v2, s0, v16
	v_lshlrev_b32_e32 v1, 4, v1
	v_fma_f64 v[177:178], v[177:178], 2.0, -v[181:182]
	v_fma_f64 v[179:180], v[179:180], 2.0, -v[183:184]
	buffer_store_dword v1, off, s[36:39], 0 offset:1848 ; 4-byte Folded Spill
	ds_write_b128 v1, v[41:44]
	ds_write_b128 v1, v[75:78] offset:3840
	buffer_store_dword v189, off, s[36:39], 0 offset:1844 ; 4-byte Folded Spill
	ds_write_b128 v189, v[79:82] offset:15360
	ds_write_b128 v189, v[83:86] offset:19200
	buffer_store_dword v0, off, s[36:39], 0 offset:1840 ; 4-byte Folded Spill
	ds_write_b128 v0, v[87:90]
	ds_write_b128 v0, v[91:94] offset:3840
	v_mad_legacy_u16 v0, v15, s0, v61
	v_lshlrev_b32_e32 v0, 4, v0
	buffer_store_dword v190, off, s[36:39], 0 offset:1836 ; 4-byte Folded Spill
	ds_write_b128 v190, v[113:116] offset:23040
	ds_write_b128 v190, v[117:120] offset:26880
	buffer_store_dword v0, off, s[36:39], 0 offset:1816 ; 4-byte Folded Spill
	ds_write_b128 v0, v[121:124]
	ds_write_b128 v0, v[125:128] offset:3840
	v_mad_legacy_u16 v0, v67, s0, v95
	v_lshlrev_b32_e32 v0, 4, v0
	;; [unrolled: 8-line block ×3, first 2 shown]
	v_addc_co_u32_e32 v61, vcc, 0, v48, vcc
	buffer_store_dword v192, off, s[36:39], 0 offset:1804 ; 4-byte Folded Spill
	ds_write_b128 v192, v[145:148] offset:38400
	ds_write_b128 v192, v[149:152] offset:42240
	buffer_store_dword v0, off, s[36:39], 0 offset:1800 ; 4-byte Folded Spill
	ds_write_b128 v0, v[153:156]
	ds_write_b128 v0, v[157:160] offset:3840
	v_mad_legacy_u16 v0, v187, s0, v188
	v_add_co_u32_e32 v9, vcc, s3, v59
	v_lshlrev_b32_e32 v0, 4, v0
	v_addc_co_u32_e32 v10, vcc, 0, v61, vcc
	buffer_store_dword v193, off, s[36:39], 0 offset:1780 ; 4-byte Folded Spill
	ds_write_b128 v193, v[161:164] offset:46080
	ds_write_b128 v193, v[165:168] offset:49920
	buffer_store_dword v0, off, s[36:39], 0 offset:1776 ; 4-byte Folded Spill
	ds_write_b128 v0, v[169:172]
	ds_write_b128 v0, v[173:176] offset:3840
	buffer_store_dword v194, off, s[36:39], 0 offset:1772 ; 4-byte Folded Spill
	ds_write_b128 v194, v[177:180] offset:53760
	ds_write_b128 v194, v[181:184] offset:57600
	s_waitcnt vmcnt(0) lgkmcnt(0)
	s_barrier
	global_load_dwordx4 v[19:22], v[9:10], off offset:3424
	s_waitcnt vmcnt(0)
	buffer_store_dword v19, off, s[36:39], 0 offset:1856 ; 4-byte Folded Spill
	s_nop 0
	buffer_store_dword v20, off, s[36:39], 0 offset:1860 ; 4-byte Folded Spill
	buffer_store_dword v21, off, s[36:39], 0 offset:1864 ; 4-byte Folded Spill
	;; [unrolled: 1-line block ×3, first 2 shown]
	ds_read_b128 v[13:16], v96 offset:30720
	s_movk_i32 s0, 0x2000
	v_lshlrev_b32_e32 v169, 4, v5
	v_lshlrev_b32_e32 v170, 4, v4
	;; [unrolled: 1-line block ×3, first 2 shown]
	s_waitcnt lgkmcnt(0)
	v_mul_f64 v[0:1], v[15:16], v[21:22]
	v_fma_f64 v[17:18], v[13:14], v[19:20], -v[0:1]
	v_mul_f64 v[0:1], v[13:14], v[21:22]
	v_add_co_u32_e32 v21, vcc, s0, v59
	v_addc_co_u32_e32 v22, vcc, 0, v61, vcc
	global_load_dwordx4 v[25:28], v[21:22], off offset:1376
	s_waitcnt vmcnt(0)
	buffer_store_dword v25, off, s[36:39], 0 offset:1872 ; 4-byte Folded Spill
	s_nop 0
	buffer_store_dword v26, off, s[36:39], 0 offset:1876 ; 4-byte Folded Spill
	buffer_store_dword v27, off, s[36:39], 0 offset:1880 ; 4-byte Folded Spill
	;; [unrolled: 1-line block ×3, first 2 shown]
	global_load_dwordx4 v[31:34], v[21:22], off offset:3424
	v_fma_f64 v[19:20], v[15:16], v[19:20], v[0:1]
	ds_read_b128 v[13:16], v96 offset:32768
	s_waitcnt vmcnt(0)
	buffer_store_dword v31, off, s[36:39], 0 offset:1888 ; 4-byte Folded Spill
	s_nop 0
	buffer_store_dword v32, off, s[36:39], 0 offset:1892 ; 4-byte Folded Spill
	buffer_store_dword v33, off, s[36:39], 0 offset:1896 ; 4-byte Folded Spill
	;; [unrolled: 1-line block ×3, first 2 shown]
	s_waitcnt lgkmcnt(0)
	v_mul_f64 v[0:1], v[15:16], v[27:28]
	s_mov_b64 s[0:1], 0x1e0
	v_cmp_gt_u64_e32 vcc, s[0:1], v[49:50]
	v_fma_f64 v[23:24], v[13:14], v[25:26], -v[0:1]
	v_mul_f64 v[0:1], v[13:14], v[27:28]
	v_fma_f64 v[25:26], v[15:16], v[25:26], v[0:1]
	ds_read_b128 v[13:16], v96 offset:34816
	s_waitcnt lgkmcnt(0)
	v_mul_f64 v[0:1], v[15:16], v[33:34]
	v_fma_f64 v[29:30], v[13:14], v[31:32], -v[0:1]
	v_mul_f64 v[0:1], v[13:14], v[33:34]
	v_fma_f64 v[31:32], v[15:16], v[31:32], v[0:1]
	v_add_co_u32_e64 v0, s[0:1], s33, v253
	v_addc_co_u32_e64 v2, s[0:1], 0, -1, s[0:1]
	v_cndmask_b32_e32 v1, v0, v49, vcc
	v_cndmask_b32_e64 v2, v2, 0, vcc
	v_lshlrev_b64 v[13:14], 4, v[1:2]
	s_mov_b64 s[0:1], 0x1df
	v_add_co_u32_e32 v0, vcc, s2, v13
	v_addc_co_u32_e32 v2, vcc, v48, v14, vcc
	v_add_co_u32_e32 v13, vcc, s3, v0
	v_addc_co_u32_e32 v14, vcc, 0, v2, vcc
	global_load_dwordx4 v[33:36], v[13:14], off offset:3424
	s_waitcnt vmcnt(0)
	buffer_store_dword v33, off, s[36:39], 0 offset:1904 ; 4-byte Folded Spill
	s_nop 0
	buffer_store_dword v34, off, s[36:39], 0 offset:1908 ; 4-byte Folded Spill
	buffer_store_dword v35, off, s[36:39], 0 offset:1912 ; 4-byte Folded Spill
	;; [unrolled: 1-line block ×3, first 2 shown]
	ds_read_b128 v[13:16], v96 offset:36864
	v_lshrrev_b32_e32 v2, 19, v12
	v_mul_lo_u16_e32 v0, 0x1e0, v2
	v_sub_u16_e32 v12, v62, v0
	v_lshlrev_b32_e32 v0, 4, v12
	v_add_co_u32_e32 v0, vcc, s2, v0
	s_movk_i32 s33, 0xffc0
	s_waitcnt lgkmcnt(0)
	v_mul_f64 v[27:28], v[15:16], v[35:36]
	v_fma_f64 v[37:38], v[13:14], v[33:34], -v[27:28]
	v_mul_f64 v[13:14], v[13:14], v[35:36]
	v_fma_f64 v[39:40], v[15:16], v[33:34], v[13:14]
	global_load_dwordx4 v[33:36], v[9:10], off offset:3936
	s_waitcnt vmcnt(0)
	buffer_store_dword v33, off, s[36:39], 0 offset:1920 ; 4-byte Folded Spill
	s_nop 0
	buffer_store_dword v34, off, s[36:39], 0 offset:1924 ; 4-byte Folded Spill
	buffer_store_dword v35, off, s[36:39], 0 offset:1928 ; 4-byte Folded Spill
	buffer_store_dword v36, off, s[36:39], 0 offset:1932 ; 4-byte Folded Spill
	ds_read_b128 v[13:16], v96 offset:38912
	s_waitcnt lgkmcnt(0)
	v_mul_f64 v[9:10], v[15:16], v[35:36]
	v_fma_f64 v[9:10], v[13:14], v[33:34], -v[9:10]
	v_mul_f64 v[13:14], v[13:14], v[35:36]
	v_fma_f64 v[45:46], v[15:16], v[33:34], v[13:14]
	global_load_dwordx4 v[33:36], v[21:22], off offset:1888
	s_waitcnt vmcnt(0)
	buffer_store_dword v33, off, s[36:39], 0 offset:1936 ; 4-byte Folded Spill
	s_nop 0
	buffer_store_dword v34, off, s[36:39], 0 offset:1940 ; 4-byte Folded Spill
	buffer_store_dword v35, off, s[36:39], 0 offset:1944 ; 4-byte Folded Spill
	buffer_store_dword v36, off, s[36:39], 0 offset:1948 ; 4-byte Folded Spill
	ds_read_b128 v[13:16], v96 offset:40960
	;; [unrolled: 13-line block ×3, first 2 shown]
	s_waitcnt lgkmcnt(0)
	v_mul_f64 v[21:22], v[15:16], v[35:36]
	v_fma_f64 v[55:56], v[13:14], v[33:34], -v[21:22]
	v_mul_f64 v[13:14], v[13:14], v[35:36]
	v_fma_f64 v[57:58], v[15:16], v[33:34], v[13:14]
	v_addc_co_u32_e32 v14, vcc, 0, v48, vcc
	v_add_co_u32_e32 v13, vcc, s3, v0
	v_addc_co_u32_e32 v14, vcc, 0, v14, vcc
	global_load_dwordx4 v[33:36], v[13:14], off offset:3424
	s_waitcnt vmcnt(0)
	buffer_store_dword v33, off, s[36:39], 0 offset:1968 ; 4-byte Folded Spill
	s_nop 0
	buffer_store_dword v34, off, s[36:39], 0 offset:1972 ; 4-byte Folded Spill
	buffer_store_dword v35, off, s[36:39], 0 offset:1976 ; 4-byte Folded Spill
	;; [unrolled: 1-line block ×3, first 2 shown]
	ds_read_b128 v[13:16], v96 offset:45056
	v_lshrrev_b32_e32 v0, 20, v11
	v_mul_lo_u16_e32 v0, 0x1e0, v0
	v_sub_u16_e32 v0, v74, v0
	v_lshlrev_b32_e32 v47, 4, v0
	v_add_co_u32_e32 v0, vcc, s2, v47
	v_addc_co_u32_e32 v11, vcc, 0, v48, vcc
	s_waitcnt lgkmcnt(0)
	v_mul_f64 v[21:22], v[15:16], v[35:36]
	v_fma_f64 v[63:64], v[13:14], v[33:34], -v[21:22]
	v_mul_f64 v[13:14], v[13:14], v[35:36]
	v_fma_f64 v[65:66], v[15:16], v[33:34], v[13:14]
	v_add_co_u32_e32 v13, vcc, s3, v0
	v_addc_co_u32_e32 v14, vcc, 0, v11, vcc
	global_load_dwordx4 v[33:36], v[13:14], off offset:3424
	s_waitcnt vmcnt(0)
	buffer_store_dword v33, off, s[36:39], 0 offset:1984 ; 4-byte Folded Spill
	s_nop 0
	buffer_store_dword v34, off, s[36:39], 0 offset:1988 ; 4-byte Folded Spill
	buffer_store_dword v35, off, s[36:39], 0 offset:1992 ; 4-byte Folded Spill
	;; [unrolled: 1-line block ×3, first 2 shown]
	ds_read_b128 v[13:16], v96 offset:47104
	v_lshrrev_b32_e32 v0, 20, v8
	v_mul_lo_u16_e32 v0, 0x1e0, v0
	v_sub_u16_e32 v0, v69, v0
	v_lshlrev_b32_e32 v60, 4, v0
	v_add_co_u32_e32 v0, vcc, s2, v60
	v_addc_co_u32_e32 v8, vcc, 0, v48, vcc
	s_waitcnt lgkmcnt(0)
	v_mul_f64 v[21:22], v[15:16], v[35:36]
	v_fma_f64 v[97:98], v[13:14], v[33:34], -v[21:22]
	v_mul_f64 v[13:14], v[13:14], v[35:36]
	v_fma_f64 v[99:100], v[15:16], v[33:34], v[13:14]
	v_add_co_u32_e32 v13, vcc, s3, v0
	v_addc_co_u32_e32 v14, vcc, 0, v8, vcc
	global_load_dwordx4 v[33:36], v[13:14], off offset:3424
	s_waitcnt vmcnt(0)
	buffer_store_dword v33, off, s[36:39], 0 offset:2000 ; 4-byte Folded Spill
	s_nop 0
	buffer_store_dword v34, off, s[36:39], 0 offset:2004 ; 4-byte Folded Spill
	buffer_store_dword v35, off, s[36:39], 0 offset:2008 ; 4-byte Folded Spill
	;; [unrolled: 1-line block ×3, first 2 shown]
	ds_read_b128 v[13:16], v96 offset:49152
	v_lshrrev_b32_e32 v0, 20, v7
	v_mul_lo_u16_e32 v0, 0x1e0, v0
	v_sub_u16_e32 v0, v71, v0
	v_lshlrev_b32_e32 v67, 4, v0
	v_add_co_u32_e32 v0, vcc, s2, v67
	v_addc_co_u32_e32 v8, vcc, 0, v48, vcc
	v_add_co_u32_e32 v7, vcc, s3, v0
	v_addc_co_u32_e32 v8, vcc, 0, v8, vcc
	v_lshrrev_b32_e32 v0, 20, v6
	v_mul_lo_u16_e32 v6, 0x1e0, v0
	v_sub_u16_e32 v11, v73, v6
	v_lshlrev_b32_e32 v6, 4, v11
	v_add_co_u32_e32 v6, vcc, s2, v6
	s_waitcnt lgkmcnt(0)
	v_mul_f64 v[21:22], v[15:16], v[35:36]
	v_fma_f64 v[101:102], v[13:14], v[33:34], -v[21:22]
	v_mul_f64 v[13:14], v[13:14], v[35:36]
	v_fma_f64 v[103:104], v[15:16], v[33:34], v[13:14]
	global_load_dwordx4 v[33:36], v[7:8], off offset:3424
	s_waitcnt vmcnt(0)
	buffer_store_dword v33, off, s[36:39], 0 offset:2016 ; 4-byte Folded Spill
	s_nop 0
	buffer_store_dword v34, off, s[36:39], 0 offset:2020 ; 4-byte Folded Spill
	buffer_store_dword v35, off, s[36:39], 0 offset:2024 ; 4-byte Folded Spill
	;; [unrolled: 1-line block ×3, first 2 shown]
	ds_read_b128 v[13:16], v96 offset:51200
	s_waitcnt lgkmcnt(0)
	v_mul_f64 v[7:8], v[15:16], v[35:36]
	v_fma_f64 v[105:106], v[13:14], v[33:34], -v[7:8]
	v_mul_f64 v[7:8], v[13:14], v[35:36]
	v_fma_f64 v[107:108], v[15:16], v[33:34], v[7:8]
	v_addc_co_u32_e32 v7, vcc, 0, v48, vcc
	v_add_co_u32_e32 v6, vcc, s3, v6
	v_addc_co_u32_e32 v7, vcc, 0, v7, vcc
	global_load_dwordx4 v[33:36], v[6:7], off offset:3424
	s_waitcnt vmcnt(0)
	buffer_store_dword v33, off, s[36:39], 0 offset:2032 ; 4-byte Folded Spill
	s_nop 0
	buffer_store_dword v34, off, s[36:39], 0 offset:2036 ; 4-byte Folded Spill
	buffer_store_dword v35, off, s[36:39], 0 offset:2040 ; 4-byte Folded Spill
	buffer_store_dword v36, off, s[36:39], 0 offset:2044 ; 4-byte Folded Spill
	ds_read_b128 v[13:16], v96 offset:53248
	v_add_co_u32_e32 v5, vcc, s2, v169
	s_waitcnt lgkmcnt(0)
	v_mul_f64 v[6:7], v[15:16], v[35:36]
	v_fma_f64 v[109:110], v[13:14], v[33:34], -v[6:7]
	v_mul_f64 v[6:7], v[13:14], v[35:36]
	v_fma_f64 v[111:112], v[15:16], v[33:34], v[6:7]
	v_addc_co_u32_e32 v6, vcc, 0, v48, vcc
	v_add_co_u32_e32 v5, vcc, s3, v5
	v_addc_co_u32_e32 v6, vcc, 0, v6, vcc
	global_load_dwordx4 v[33:36], v[5:6], off offset:3424
	s_waitcnt vmcnt(0)
	buffer_store_dword v33, off, s[36:39], 0 offset:2048 ; 4-byte Folded Spill
	s_nop 0
	buffer_store_dword v34, off, s[36:39], 0 offset:2052 ; 4-byte Folded Spill
	buffer_store_dword v35, off, s[36:39], 0 offset:2056 ; 4-byte Folded Spill
	buffer_store_dword v36, off, s[36:39], 0 offset:2060 ; 4-byte Folded Spill
	ds_read_b128 v[5:8], v96 offset:55296
	v_add_co_u32_e32 v4, vcc, s2, v170
	;; [unrolled: 17-line block ×3, first 2 shown]
	s_waitcnt lgkmcnt(0)
	v_mul_f64 v[13:14], v[6:7], v[35:36]
	v_fma_f64 v[157:158], v[4:5], v[33:34], -v[13:14]
	v_mul_f64 v[4:5], v[4:5], v[35:36]
	v_fma_f64 v[7:8], v[6:7], v[33:34], v[4:5]
	v_addc_co_u32_e32 v4, vcc, 0, v48, vcc
	v_add_co_u32_e32 v3, vcc, s3, v3
	v_addc_co_u32_e32 v4, vcc, 0, v4, vcc
	global_load_dwordx4 v[33:36], v[3:4], off offset:3424
	s_waitcnt vmcnt(0)
	buffer_store_dword v33, off, s[36:39], 0 offset:2108 ; 4-byte Folded Spill
	s_nop 0
	buffer_store_dword v34, off, s[36:39], 0 offset:2112 ; 4-byte Folded Spill
	buffer_store_dword v35, off, s[36:39], 0 offset:2116 ; 4-byte Folded Spill
	;; [unrolled: 1-line block ×3, first 2 shown]
	ds_read_b128 v[3:6], v96 offset:59392
	ds_read_b128 v[41:44], v96 offset:8192
	;; [unrolled: 1-line block ×12, first 2 shown]
	s_waitcnt lgkmcnt(10)
	v_add_f64 v[68:69], v[41:42], -v[9:10]
	v_add_f64 v[70:71], v[43:44], -v[45:46]
	s_waitcnt lgkmcnt(9)
	v_add_f64 v[92:93], v[88:89], -v[63:64]
	v_add_f64 v[94:95], v[90:91], -v[65:66]
	;; [unrolled: 3-line block ×10, first 2 shown]
	v_fma_f64 v[41:42], v[41:42], 2.0, -v[68:69]
	v_fma_f64 v[43:44], v[43:44], 2.0, -v[70:71]
	;; [unrolled: 1-line block ×18, first 2 shown]
	v_cmp_lt_u64_e32 vcc, s[0:1], v[49:50]
	v_fma_f64 v[80:81], v[80:81], 2.0, -v[84:85]
	v_fma_f64 v[82:83], v[82:83], 2.0, -v[86:87]
	s_movk_i32 s0, 0x3c0
	s_movk_i32 s3, 0x3000
	v_mad_legacy_u16 v0, v0, s0, v11
	v_lshlrev_b32_e32 v0, 4, v0
	v_mov_b32_e32 v63, v50
	v_mul_f64 v[13:14], v[5:6], v[35:36]
	v_fma_f64 v[165:166], v[3:4], v[33:34], -v[13:14]
	v_mul_f64 v[3:4], v[3:4], v[35:36]
	v_add_f64 v[165:166], v[161:162], -v[165:166]
	v_fma_f64 v[167:168], v[5:6], v[33:34], v[3:4]
	ds_read_b128 v[3:6], v96
	ds_read_b128 v[33:36], v96 offset:6144
	s_waitcnt lgkmcnt(1)
	v_add_f64 v[13:14], v[3:4], -v[17:18]
	v_add_f64 v[15:16], v[5:6], -v[19:20]
	ds_read_b128 v[17:20], v96 offset:2048
	s_waitcnt lgkmcnt(1)
	v_add_f64 v[37:38], v[33:34], -v[37:38]
	v_add_f64 v[39:40], v[35:36], -v[39:40]
	;; [unrolled: 1-line block ×3, first 2 shown]
	v_fma_f64 v[161:162], v[161:162], 2.0, -v[165:166]
	s_waitcnt lgkmcnt(0)
	v_add_f64 v[21:22], v[17:18], -v[23:24]
	v_add_f64 v[23:24], v[19:20], -v[25:26]
	ds_read_b128 v[25:28], v96 offset:4096
	v_fma_f64 v[3:4], v[3:4], 2.0, -v[13:14]
	v_fma_f64 v[5:6], v[5:6], 2.0, -v[15:16]
	;; [unrolled: 1-line block ×4, first 2 shown]
	s_waitcnt lgkmcnt(0)
	v_add_f64 v[29:30], v[25:26], -v[29:30]
	v_add_f64 v[31:32], v[27:28], -v[31:32]
	v_fma_f64 v[17:18], v[17:18], 2.0, -v[21:22]
	v_fma_f64 v[19:20], v[19:20], 2.0, -v[23:24]
	;; [unrolled: 1-line block ×3, first 2 shown]
	s_waitcnt vmcnt(0)
	s_barrier
	v_fma_f64 v[25:26], v[25:26], 2.0, -v[29:30]
	v_fma_f64 v[27:28], v[27:28], 2.0, -v[31:32]
	ds_write_b128 v96, v[3:6]
	ds_write_b128 v96, v[13:16] offset:7680
	ds_write_b128 v96, v[17:20] offset:2048
	;; [unrolled: 1-line block ×5, first 2 shown]
	v_mov_b32_e32 v3, 0x3c0
	v_cndmask_b32_e32 v3, 0, v3, vcc
	v_add_lshl_u32 v1, v3, v1, 4
	buffer_store_dword v1, off, s[36:39], 0 offset:2128 ; 4-byte Folded Spill
	ds_write_b128 v1, v[33:36]
	ds_write_b128 v1, v[37:40] offset:7680
	ds_write_b128 v96, v[41:44] offset:15872
	;; [unrolled: 1-line block ×7, first 2 shown]
	v_mad_legacy_u16 v1, v2, s0, v12
	v_add_co_u32_e32 v5, vcc, s3, v59
	v_lshlrev_b32_e32 v1, 4, v1
	v_addc_co_u32_e32 v6, vcc, 0, v61, vcc
	buffer_store_dword v1, off, s[36:39], 0 offset:2124 ; 4-byte Folded Spill
	ds_write_b128 v1, v[88:91]
	ds_write_b128 v1, v[92:95] offset:7680
	buffer_store_dword v47, off, s[36:39], 0 offset:2104 ; 4-byte Folded Spill
	ds_write_b128 v47, v[113:116] offset:30720
	ds_write_b128 v47, v[117:120] offset:38400
	buffer_store_dword v60, off, s[36:39], 0 offset:2100 ; 4-byte Folded Spill
	ds_write_b128 v60, v[121:124] offset:30720
	ds_write_b128 v60, v[125:128] offset:38400
	buffer_store_dword v67, off, s[36:39], 0 offset:2096 ; 4-byte Folded Spill
	ds_write_b128 v67, v[129:132] offset:30720
	ds_write_b128 v67, v[133:136] offset:38400
	buffer_store_dword v0, off, s[36:39], 0 offset:2092 ; 4-byte Folded Spill
	ds_write_b128 v0, v[137:140]
	ds_write_b128 v0, v[141:144] offset:7680
	buffer_store_dword v169, off, s[36:39], 0 offset:2088 ; 4-byte Folded Spill
	ds_write_b128 v169, v[145:148] offset:46080
	ds_write_b128 v169, v[149:152] offset:53760
	buffer_store_dword v170, off, s[36:39], 0 offset:2068 ; 4-byte Folded Spill
	ds_write_b128 v170, v[153:156] offset:46080
	;; [unrolled: 3-line block ×3, first 2 shown]
	ds_write_b128 v171, v[165:168] offset:53760
	s_waitcnt vmcnt(0) lgkmcnt(0)
	s_barrier
	global_load_dwordx4 v[7:10], v[5:6], off offset:2912
	ds_read_b128 v[1:4], v96 offset:30720
	s_movk_i32 s0, 0x4000
	s_waitcnt vmcnt(0)
	v_mov_b32_e32 v12, v10
	v_mov_b32_e32 v11, v9
	v_mov_b32_e32 v10, v8
	v_mov_b32_e32 v9, v7
	buffer_store_dword v9, off, s[36:39], 0 offset:2132 ; 4-byte Folded Spill
	s_nop 0
	buffer_store_dword v10, off, s[36:39], 0 offset:2136 ; 4-byte Folded Spill
	buffer_store_dword v11, off, s[36:39], 0 offset:2140 ; 4-byte Folded Spill
	;; [unrolled: 1-line block ×3, first 2 shown]
	s_waitcnt lgkmcnt(0)
	v_mul_f64 v[7:8], v[3:4], v[11:12]
	v_fma_f64 v[7:8], v[1:2], v[9:10], -v[7:8]
	v_mul_f64 v[0:1], v[1:2], v[11:12]
	v_add_co_u32_e32 v11, vcc, s0, v59
	v_addc_co_u32_e32 v12, vcc, 0, v61, vcc
	global_load_dwordx4 v[17:20], v[11:12], off offset:864
	s_movk_i32 s0, 0x5000
	v_fma_f64 v[9:10], v[3:4], v[9:10], v[0:1]
	ds_read_b128 v[1:4], v96 offset:32768
	s_waitcnt vmcnt(0) lgkmcnt(0)
	v_mul_f64 v[13:14], v[3:4], v[19:20]
	v_fma_f64 v[15:16], v[1:2], v[17:18], -v[13:14]
	buffer_store_dword v17, off, s[36:39], 0 offset:2148 ; 4-byte Folded Spill
	s_nop 0
	buffer_store_dword v18, off, s[36:39], 0 offset:2152 ; 4-byte Folded Spill
	buffer_store_dword v19, off, s[36:39], 0 offset:2156 ; 4-byte Folded Spill
	;; [unrolled: 1-line block ×3, first 2 shown]
	v_mul_f64 v[0:1], v[1:2], v[19:20]
	global_load_dwordx4 v[19:22], v[11:12], off offset:2912
	s_waitcnt vmcnt(0)
	buffer_store_dword v19, off, s[36:39], 0 offset:2164 ; 4-byte Folded Spill
	s_nop 0
	buffer_store_dword v20, off, s[36:39], 0 offset:2168 ; 4-byte Folded Spill
	buffer_store_dword v21, off, s[36:39], 0 offset:2172 ; 4-byte Folded Spill
	;; [unrolled: 1-line block ×3, first 2 shown]
	v_fma_f64 v[17:18], v[3:4], v[17:18], v[0:1]
	ds_read_b128 v[1:4], v96 offset:34816
	s_waitcnt lgkmcnt(0)
	v_mul_f64 v[13:14], v[3:4], v[21:22]
	v_fma_f64 v[23:24], v[1:2], v[19:20], -v[13:14]
	v_add_co_u32_e32 v13, vcc, s0, v59
	v_addc_co_u32_e32 v14, vcc, 0, v61, vcc
	global_load_dwordx4 v[27:30], v[13:14], off offset:864
	v_mul_f64 v[0:1], v[1:2], v[21:22]
	s_movk_i32 s0, 0x6000
	v_fma_f64 v[25:26], v[3:4], v[19:20], v[0:1]
	ds_read_b128 v[1:4], v96 offset:36864
	s_waitcnt vmcnt(0) lgkmcnt(0)
	v_mul_f64 v[19:20], v[3:4], v[29:30]
	v_fma_f64 v[31:32], v[1:2], v[27:28], -v[19:20]
	buffer_store_dword v27, off, s[36:39], 0 offset:2180 ; 4-byte Folded Spill
	s_nop 0
	buffer_store_dword v28, off, s[36:39], 0 offset:2184 ; 4-byte Folded Spill
	buffer_store_dword v29, off, s[36:39], 0 offset:2188 ; 4-byte Folded Spill
	;; [unrolled: 1-line block ×3, first 2 shown]
	v_mul_f64 v[0:1], v[1:2], v[29:30]
	v_fma_f64 v[33:34], v[3:4], v[27:28], v[0:1]
	global_load_dwordx4 v[27:30], v[13:14], off offset:2912
	ds_read_b128 v[1:4], v96 offset:38912
	s_waitcnt vmcnt(0) lgkmcnt(0)
	v_mul_f64 v[19:20], v[3:4], v[29:30]
	v_fma_f64 v[39:40], v[1:2], v[27:28], -v[19:20]
	buffer_store_dword v27, off, s[36:39], 0 offset:2196 ; 4-byte Folded Spill
	s_nop 0
	buffer_store_dword v28, off, s[36:39], 0 offset:2200 ; 4-byte Folded Spill
	buffer_store_dword v29, off, s[36:39], 0 offset:2204 ; 4-byte Folded Spill
	;; [unrolled: 1-line block ×3, first 2 shown]
	v_add_co_u32_e32 v19, vcc, s0, v59
	v_addc_co_u32_e32 v20, vcc, 0, v61, vcc
	global_load_dwordx4 v[249:252], v[19:20], off offset:864
	global_load_dwordx4 v[213:216], v[19:20], off offset:1888
	;; [unrolled: 1-line block ×4, first 2 shown]
	s_mov_b64 s[0:1], 0x3c0
	v_cmp_gt_u64_e32 vcc, s[0:1], v[62:63]
	global_load_dwordx4 v[229:232], v[5:6], off offset:3936
	global_load_dwordx4 v[233:236], v[11:12], off offset:1888
	;; [unrolled: 1-line block ×5, first 2 shown]
	ds_read_b128 v[68:71], v96 offset:12288
	ds_read_b128 v[76:79], v96 offset:14336
	;; [unrolled: 1-line block ×10, first 2 shown]
	s_waitcnt lgkmcnt(3)
	v_add_f64 v[39:40], v[35:36], -v[39:40]
	v_fma_f64 v[35:36], v[35:36], 2.0, -v[39:40]
	v_mul_f64 v[0:1], v[1:2], v[29:30]
	v_fma_f64 v[41:42], v[3:4], v[27:28], v[0:1]
	ds_read_b128 v[1:4], v96 offset:40960
	ds_read_b128 v[27:30], v96 offset:6144
	s_waitcnt vmcnt(8) lgkmcnt(1)
	v_mul_f64 v[21:22], v[3:4], v[251:252]
	s_waitcnt lgkmcnt(0)
	v_add_f64 v[31:32], v[27:28], -v[31:32]
	v_add_f64 v[33:34], v[29:30], -v[33:34]
	;; [unrolled: 1-line block ×3, first 2 shown]
	v_fma_f64 v[64:65], v[1:2], v[249:250], -v[21:22]
	v_mul_f64 v[0:1], v[1:2], v[251:252]
	v_fma_f64 v[27:28], v[27:28], 2.0, -v[31:32]
	v_fma_f64 v[29:30], v[29:30], 2.0, -v[33:34]
	;; [unrolled: 1-line block ×3, first 2 shown]
	v_fma_f64 v[66:67], v[3:4], v[249:250], v[0:1]
	ds_read_b128 v[1:4], v96 offset:43008
	s_waitcnt vmcnt(6) lgkmcnt(0)
	v_mul_f64 v[21:22], v[3:4], v[247:248]
	v_add_f64 v[49:50], v[45:46], -v[66:67]
	v_fma_f64 v[72:73], v[1:2], v[245:246], -v[21:22]
	v_mul_f64 v[0:1], v[1:2], v[247:248]
	v_fma_f64 v[45:46], v[45:46], 2.0, -v[49:50]
	v_add_f64 v[72:73], v[68:69], -v[72:73]
	v_fma_f64 v[74:75], v[3:4], v[245:246], v[0:1]
	v_add_co_u32_e64 v0, s[0:1], s33, v253
	v_addc_co_u32_e64 v1, s[0:1], 0, -1, s[0:1]
	v_cndmask_b32_e32 v101, v0, v62, vcc
	v_cndmask_b32_e64 v102, v1, 0, vcc
	v_lshlrev_b64 v[0:1], 4, v[101:102]
	v_add_f64 v[74:75], v[70:71], -v[74:75]
	v_add_co_u32_e32 v0, vcc, s2, v0
	v_addc_co_u32_e32 v1, vcc, v48, v1, vcc
	v_add_co_u32_e32 v0, vcc, s3, v0
	v_addc_co_u32_e32 v1, vcc, 0, v1, vcc
	global_load_dwordx4 v[237:240], v[0:1], off offset:2912
	ds_read_b128 v[1:4], v96 offset:45056
	v_add_f64 v[47:48], v[43:44], -v[64:65]
	s_mov_b64 s[0:1], 0x3bf
	v_cmp_lt_u64_e32 vcc, s[0:1], v[62:63]
	s_movk_i32 s0, 0x7000
	v_fma_f64 v[68:69], v[68:69], 2.0, -v[72:73]
	v_fma_f64 v[70:71], v[70:71], 2.0, -v[74:75]
	s_load_dwordx2 s[2:3], s[4:5], 0x38
	v_fma_f64 v[43:44], v[43:44], 2.0, -v[47:48]
	s_waitcnt vmcnt(0) lgkmcnt(0)
	v_mul_f64 v[21:22], v[3:4], v[239:240]
	v_fma_f64 v[80:81], v[1:2], v[237:238], -v[21:22]
	v_mul_f64 v[0:1], v[1:2], v[239:240]
	v_add_f64 v[80:81], v[76:77], -v[80:81]
	v_fma_f64 v[82:83], v[3:4], v[237:238], v[0:1]
	ds_read_b128 v[1:4], v96 offset:47104
	s_waitcnt lgkmcnt(0)
	v_mul_f64 v[5:6], v[3:4], v[231:232]
	v_fma_f64 v[76:77], v[76:77], 2.0, -v[80:81]
	v_add_f64 v[82:83], v[78:79], -v[82:83]
	v_fma_f64 v[5:6], v[1:2], v[229:230], -v[5:6]
	v_mul_f64 v[0:1], v[1:2], v[231:232]
	v_fma_f64 v[78:79], v[78:79], 2.0, -v[82:83]
	v_add_f64 v[88:89], v[84:85], -v[5:6]
	v_fma_f64 v[90:91], v[3:4], v[229:230], v[0:1]
	ds_read_b128 v[1:4], v96 offset:49152
	s_waitcnt lgkmcnt(0)
	v_mul_f64 v[21:22], v[3:4], v[235:236]
	v_fma_f64 v[84:85], v[84:85], 2.0, -v[88:89]
	v_add_f64 v[90:91], v[86:87], -v[90:91]
	v_fma_f64 v[102:103], v[1:2], v[233:234], -v[21:22]
	v_mul_f64 v[0:1], v[1:2], v[235:236]
	ds_read_b128 v[19:22], v96 offset:4096
	v_fma_f64 v[86:87], v[86:87], 2.0, -v[90:91]
	s_waitcnt lgkmcnt(0)
	v_add_f64 v[23:24], v[19:20], -v[23:24]
	v_add_f64 v[25:26], v[21:22], -v[25:26]
	v_fma_f64 v[104:105], v[3:4], v[233:234], v[0:1]
	ds_read_b128 v[1:4], v96 offset:51200
	v_add_f64 v[113:114], v[92:93], -v[102:103]
	s_waitcnt lgkmcnt(0)
	v_mul_f64 v[11:12], v[3:4], v[223:224]
	v_fma_f64 v[19:20], v[19:20], 2.0, -v[23:24]
	v_add_f64 v[115:116], v[94:95], -v[104:105]
	v_fma_f64 v[21:22], v[21:22], 2.0, -v[25:26]
	v_fma_f64 v[92:93], v[92:93], 2.0, -v[113:114]
	v_fma_f64 v[106:107], v[1:2], v[221:222], -v[11:12]
	v_mul_f64 v[0:1], v[1:2], v[223:224]
	v_fma_f64 v[94:95], v[94:95], 2.0, -v[115:116]
	v_add_f64 v[121:122], v[117:118], -v[106:107]
	v_fma_f64 v[108:109], v[3:4], v[221:222], v[0:1]
	ds_read_b128 v[1:4], v96 offset:53248
	s_waitcnt lgkmcnt(0)
	v_mul_f64 v[11:12], v[3:4], v[227:228]
	v_fma_f64 v[117:118], v[117:118], 2.0, -v[121:122]
	v_add_f64 v[123:124], v[119:120], -v[108:109]
	v_fma_f64 v[110:111], v[1:2], v[225:226], -v[11:12]
	v_mul_f64 v[0:1], v[1:2], v[227:228]
	v_fma_f64 v[119:120], v[119:120], 2.0, -v[123:124]
	v_add_f64 v[129:130], v[125:126], -v[110:111]
	v_fma_f64 v[131:132], v[3:4], v[225:226], v[0:1]
	ds_read_b128 v[1:4], v96 offset:55296
	s_waitcnt lgkmcnt(0)
	v_mul_f64 v[11:12], v[3:4], v[211:212]
	v_fma_f64 v[125:126], v[125:126], 2.0, -v[129:130]
	v_add_f64 v[131:132], v[127:128], -v[131:132]
	;; [unrolled: 10-line block ×3, first 2 shown]
	v_fma_f64 v[141:142], v[1:2], v[213:214], -v[11:12]
	v_mul_f64 v[0:1], v[1:2], v[215:216]
	v_fma_f64 v[135:136], v[135:136], 2.0, -v[151:152]
	v_fma_f64 v[143:144], v[3:4], v[213:214], v[0:1]
	ds_read_b128 v[1:4], v96 offset:59392
	s_waitcnt lgkmcnt(0)
	v_mul_f64 v[11:12], v[3:4], v[207:208]
	v_fma_f64 v[145:146], v[1:2], v[205:206], -v[11:12]
	v_mul_f64 v[0:1], v[1:2], v[207:208]
	ds_read_b128 v[11:14], v96 offset:2048
	s_waitcnt lgkmcnt(0)
	v_add_f64 v[15:16], v[11:12], -v[15:16]
	v_add_f64 v[17:18], v[13:14], -v[17:18]
	v_fma_f64 v[147:148], v[3:4], v[205:206], v[0:1]
	ds_read_b128 v[1:4], v96
	s_waitcnt lgkmcnt(0)
	v_add_f64 v[51:52], v[1:2], -v[7:8]
	v_add_f64 v[53:54], v[3:4], -v[9:10]
	v_fma_f64 v[55:56], v[11:12], 2.0, -v[15:16]
	v_add_f64 v[8:9], v[173:174], -v[141:142]
	v_add_f64 v[10:11], v[175:176], -v[143:144]
	v_fma_f64 v[57:58], v[13:14], 2.0, -v[17:18]
	v_mov_b32_e32 v12, 0x780
	v_cndmask_b32_e32 v12, 0, v12, vcc
	v_fma_f64 v[97:98], v[1:2], 2.0, -v[51:52]
	v_fma_f64 v[99:100], v[3:4], 2.0, -v[53:54]
	ds_read_b128 v[0:3], v96 offset:28672
	v_add_lshl_u32 v12, v12, v101, 4
	v_fma_f64 v[173:174], v[173:174], 2.0, -v[8:9]
	v_fma_f64 v[175:176], v[175:176], 2.0, -v[10:11]
	s_waitcnt lgkmcnt(0)
	v_add_f64 v[4:5], v[0:1], -v[145:146]
	v_add_f64 v[6:7], v[2:3], -v[147:148]
	s_barrier
	ds_write_b128 v96, v[97:100]
	ds_write_b128 v96, v[51:54] offset:15360
	ds_write_b128 v96, v[55:58] offset:2048
	;; [unrolled: 1-line block ×13, first 2 shown]
	buffer_store_dword v12, off, s[36:39], 0 offset:2212 ; 4-byte Folded Spill
	v_fma_f64 v[0:1], v[0:1], 2.0, -v[4:5]
	v_fma_f64 v[2:3], v[2:3], 2.0, -v[6:7]
	ds_write_b128 v12, v[76:79]
	ds_write_b128 v12, v[80:83] offset:15360
	ds_write_b128 v96, v[84:87] offset:31744
	;; [unrolled: 1-line block ×15, first 2 shown]
	v_add_co_u32_e32 v4, vcc, s0, v59
	v_addc_co_u32_e32 v5, vcc, 0, v61, vcc
	s_waitcnt vmcnt(0) lgkmcnt(0)
	s_barrier
	global_load_dwordx4 v[241:244], v[4:5], off offset:1888
	global_load_dwordx4 v[217:220], v[4:5], off offset:3936
	s_mov_b32 s0, 0x8000
	v_add_co_u32_e32 v10, vcc, s0, v59
	v_addc_co_u32_e32 v11, vcc, 0, v61, vcc
	global_load_dwordx4 v[201:204], v[10:11], off offset:1888
	global_load_dwordx4 v[197:200], v[10:11], off offset:3936
	ds_read_b128 v[0:3], v96 offset:30720
	s_mov_b32 s0, 0x9000
	ds_read_b128 v[24:27], v96 offset:6144
	ds_read_b128 v[32:35], v96 offset:8192
	;; [unrolled: 1-line block ×4, first 2 shown]
	s_waitcnt vmcnt(3) lgkmcnt(4)
	v_mul_f64 v[6:7], v[2:3], v[243:244]
	v_fma_f64 v[6:7], v[0:1], v[241:242], -v[6:7]
	v_mul_f64 v[0:1], v[0:1], v[243:244]
	v_fma_f64 v[8:9], v[2:3], v[241:242], v[0:1]
	ds_read_b128 v[0:3], v96 offset:32768
	s_waitcnt vmcnt(2) lgkmcnt(0)
	v_mul_f64 v[4:5], v[2:3], v[219:220]
	v_fma_f64 v[4:5], v[0:1], v[217:218], -v[4:5]
	v_mul_f64 v[0:1], v[0:1], v[219:220]
	v_fma_f64 v[12:13], v[2:3], v[217:218], v[0:1]
	ds_read_b128 v[0:3], v96 offset:34816
	;; [unrolled: 6-line block ×3, first 2 shown]
	s_waitcnt vmcnt(0) lgkmcnt(0)
	v_mul_f64 v[10:11], v[2:3], v[199:200]
	v_fma_f64 v[22:23], v[0:1], v[197:198], -v[10:11]
	v_add_co_u32_e32 v10, vcc, s0, v59
	v_addc_co_u32_e32 v11, vcc, 0, v61, vcc
	global_load_dwordx4 v[193:196], v[10:11], off offset:1888
	global_load_dwordx4 v[189:192], v[10:11], off offset:3936
	v_mul_f64 v[0:1], v[0:1], v[199:200]
	s_mov_b32 s0, 0xa000
	v_add_f64 v[65:66], v[24:25], -v[22:23]
	v_fma_f64 v[28:29], v[2:3], v[197:198], v[0:1]
	ds_read_b128 v[0:3], v96 offset:38912
	v_fma_f64 v[109:110], v[24:25], 2.0, -v[65:66]
	v_add_f64 v[67:68], v[26:27], -v[28:29]
	v_fma_f64 v[111:112], v[26:27], 2.0, -v[67:68]
	s_waitcnt vmcnt(1) lgkmcnt(0)
	v_mul_f64 v[16:17], v[2:3], v[195:196]
	v_fma_f64 v[30:31], v[0:1], v[193:194], -v[16:17]
	v_mul_f64 v[0:1], v[0:1], v[195:196]
	v_add_f64 v[36:37], v[32:33], -v[30:31]
	v_fma_f64 v[38:39], v[2:3], v[193:194], v[0:1]
	ds_read_b128 v[0:3], v96 offset:40960
	s_waitcnt vmcnt(0) lgkmcnt(0)
	v_mul_f64 v[10:11], v[2:3], v[191:192]
	v_fma_f64 v[105:106], v[32:33], 2.0, -v[36:37]
	v_add_f64 v[38:39], v[34:35], -v[38:39]
	v_fma_f64 v[44:45], v[0:1], v[189:190], -v[10:11]
	v_add_co_u32_e32 v10, vcc, s0, v59
	v_addc_co_u32_e32 v11, vcc, 0, v61, vcc
	global_load_dwordx4 v[181:184], v[10:11], off offset:3936
	global_load_dwordx4 v[185:188], v[10:11], off offset:1888
	v_mul_f64 v[0:1], v[0:1], v[191:192]
	s_mov_b32 s0, 0xb000
	v_add_f64 v[44:45], v[40:41], -v[44:45]
	v_fma_f64 v[107:108], v[34:35], 2.0, -v[38:39]
	v_fma_f64 v[46:47], v[2:3], v[189:190], v[0:1]
	ds_read_b128 v[0:3], v96 offset:43008
	v_fma_f64 v[101:102], v[40:41], 2.0, -v[44:45]
	v_add_f64 v[46:47], v[42:43], -v[46:47]
	v_fma_f64 v[103:104], v[42:43], 2.0, -v[46:47]
	s_waitcnt vmcnt(0) lgkmcnt(0)
	v_mul_f64 v[16:17], v[2:3], v[187:188]
	v_fma_f64 v[52:53], v[0:1], v[185:186], -v[16:17]
	v_mul_f64 v[0:1], v[0:1], v[187:188]
	v_add_f64 v[52:53], v[48:49], -v[52:53]
	v_fma_f64 v[54:55], v[2:3], v[185:186], v[0:1]
	ds_read_b128 v[0:3], v96 offset:45056
	s_waitcnt lgkmcnt(0)
	v_mul_f64 v[10:11], v[2:3], v[183:184]
	v_fma_f64 v[89:90], v[48:49], 2.0, -v[52:53]
	v_add_f64 v[54:55], v[50:51], -v[54:55]
	v_fma_f64 v[62:63], v[0:1], v[181:182], -v[10:11]
	v_add_co_u32_e32 v10, vcc, s0, v59
	v_addc_co_u32_e32 v11, vcc, 0, v61, vcc
	global_load_dwordx4 v[177:180], v[10:11], off offset:1888
	global_load_dwordx4 v[173:176], v[10:11], off offset:3936
	v_mul_f64 v[0:1], v[0:1], v[183:184]
	s_mov_b32 s0, 0xc000
	v_fma_f64 v[91:92], v[50:51], 2.0, -v[54:55]
	v_fma_f64 v[81:82], v[2:3], v[181:182], v[0:1]
	ds_read_b128 v[0:3], v96 offset:47104
	s_waitcnt vmcnt(1) lgkmcnt(0)
	v_mul_f64 v[16:17], v[2:3], v[179:180]
	v_fma_f64 v[83:84], v[0:1], v[177:178], -v[16:17]
	v_mul_f64 v[0:1], v[0:1], v[179:180]
	v_fma_f64 v[93:94], v[2:3], v[177:178], v[0:1]
	ds_read_b128 v[0:3], v96 offset:49152
	s_waitcnt vmcnt(0) lgkmcnt(0)
	v_mul_f64 v[10:11], v[2:3], v[175:176]
	v_fma_f64 v[125:126], v[0:1], v[173:174], -v[10:11]
	v_add_co_u32_e32 v10, vcc, s0, v59
	v_addc_co_u32_e32 v11, vcc, 0, v61, vcc
	global_load_dwordx4 v[165:168], v[10:11], off offset:3936
	global_load_dwordx4 v[169:172], v[10:11], off offset:1888
	v_mul_f64 v[0:1], v[0:1], v[175:176]
	s_mov_b32 s0, 0xd000
	v_fma_f64 v[127:128], v[2:3], v[173:174], v[0:1]
	ds_read_b128 v[0:3], v96 offset:51200
	s_waitcnt vmcnt(0) lgkmcnt(0)
	v_mul_f64 v[16:17], v[2:3], v[171:172]
	v_fma_f64 v[129:130], v[0:1], v[169:170], -v[16:17]
	v_mul_f64 v[0:1], v[0:1], v[171:172]
	v_fma_f64 v[131:132], v[2:3], v[169:170], v[0:1]
	ds_read_b128 v[0:3], v96 offset:53248
	s_waitcnt lgkmcnt(0)
	v_mul_f64 v[10:11], v[2:3], v[167:168]
	v_fma_f64 v[133:134], v[0:1], v[165:166], -v[10:11]
	v_add_co_u32_e32 v10, vcc, s0, v59
	v_addc_co_u32_e32 v11, vcc, 0, v61, vcc
	global_load_dwordx4 v[161:164], v[10:11], off offset:1888
	global_load_dwordx4 v[157:160], v[10:11], off offset:3936
	v_mul_f64 v[0:1], v[0:1], v[167:168]
	s_mov_b32 s0, 0xe000
	v_fma_f64 v[135:136], v[2:3], v[165:166], v[0:1]
	ds_read_b128 v[0:3], v96 offset:55296
	s_waitcnt vmcnt(1) lgkmcnt(0)
	v_mul_f64 v[16:17], v[2:3], v[163:164]
	v_fma_f64 v[137:138], v[0:1], v[161:162], -v[16:17]
	v_mul_f64 v[0:1], v[0:1], v[163:164]
	ds_read_b128 v[16:19], v96 offset:4096
	s_waitcnt lgkmcnt(0)
	v_add_f64 v[71:72], v[18:19], -v[20:21]
	v_add_f64 v[69:70], v[16:17], -v[14:15]
	v_fma_f64 v[139:140], v[2:3], v[161:162], v[0:1]
	ds_read_b128 v[0:3], v96 offset:57344
	s_waitcnt vmcnt(0) lgkmcnt(0)
	v_mul_f64 v[10:11], v[2:3], v[159:160]
	v_fma_f64 v[113:114], v[16:17], 2.0, -v[69:70]
	v_fma_f64 v[115:116], v[18:19], 2.0, -v[71:72]
	v_fma_f64 v[141:142], v[0:1], v[157:158], -v[10:11]
	v_mul_f64 v[0:1], v[0:1], v[159:160]
	v_fma_f64 v[143:144], v[2:3], v[157:158], v[0:1]
	v_add_co_u32_e32 v0, vcc, s0, v59
	v_addc_co_u32_e32 v1, vcc, 0, v61, vcc
	global_load_dwordx4 v[153:156], v[0:1], off offset:1888
	ds_read_b128 v[0:3], v96 offset:59392
	ds_read_b128 v[56:59], v96 offset:14336
	s_waitcnt lgkmcnt(0)
	v_add_f64 v[97:98], v[56:57], -v[62:63]
	ds_read_b128 v[61:64], v96 offset:16384
	v_add_f64 v[99:100], v[58:59], -v[81:82]
	s_waitcnt lgkmcnt(0)
	v_add_f64 v[28:29], v[61:62], -v[83:84]
	v_add_f64 v[30:31], v[63:64], -v[93:94]
	v_fma_f64 v[85:86], v[56:57], 2.0, -v[97:98]
	v_fma_f64 v[87:88], v[58:59], 2.0, -v[99:100]
	;; [unrolled: 1-line block ×4, first 2 shown]
	s_waitcnt vmcnt(0)
	v_mul_f64 v[10:11], v[2:3], v[155:156]
	v_fma_f64 v[145:146], v[0:1], v[153:154], -v[10:11]
	v_mul_f64 v[0:1], v[0:1], v[155:156]
	v_fma_f64 v[147:148], v[2:3], v[153:154], v[0:1]
	ds_read_b128 v[0:3], v96
	s_waitcnt lgkmcnt(0)
	v_add_f64 v[77:78], v[0:1], -v[6:7]
	v_add_f64 v[79:80], v[2:3], -v[8:9]
	ds_read_b128 v[8:11], v96 offset:2048
	s_waitcnt lgkmcnt(0)
	v_add_f64 v[75:76], v[10:11], -v[12:13]
	v_fma_f64 v[121:122], v[0:1], 2.0, -v[77:78]
	v_fma_f64 v[123:124], v[2:3], 2.0, -v[79:80]
	ds_read_b128 v[0:3], v96 offset:18432
	v_add_f64 v[73:74], v[8:9], -v[4:5]
	s_waitcnt lgkmcnt(0)
	v_add_f64 v[24:25], v[0:1], -v[125:126]
	v_add_f64 v[26:27], v[2:3], -v[127:128]
	v_fma_f64 v[119:120], v[10:11], 2.0, -v[75:76]
	v_fma_f64 v[117:118], v[8:9], 2.0, -v[73:74]
	;; [unrolled: 1-line block ×4, first 2 shown]
	ds_read_b128 v[0:3], v96 offset:20480
	s_waitcnt lgkmcnt(0)
	v_add_f64 v[20:21], v[0:1], -v[129:130]
	v_add_f64 v[22:23], v[2:3], -v[131:132]
	v_fma_f64 v[56:57], v[0:1], 2.0, -v[20:21]
	v_fma_f64 v[58:59], v[2:3], 2.0, -v[22:23]
	ds_read_b128 v[0:3], v96 offset:22528
	s_waitcnt lgkmcnt(0)
	v_add_f64 v[16:17], v[0:1], -v[133:134]
	v_add_f64 v[18:19], v[2:3], -v[135:136]
	v_fma_f64 v[48:49], v[0:1], 2.0, -v[16:17]
	v_fma_f64 v[50:51], v[2:3], 2.0, -v[18:19]
	;; [unrolled: 6-line block ×5, first 2 shown]
	ds_write_b128 v96, v[121:124]
	ds_write_b128 v96, v[77:80] offset:30720
	ds_write_b128 v96, v[117:120] offset:2048
	;; [unrolled: 1-line block ×29, first 2 shown]
	s_waitcnt lgkmcnt(0)
	s_barrier
	global_load_dwordx4 v[2:5], v96, s[6:7]
	ds_read_b128 v[32:35], v96 offset:30720
	ds_read_b128 v[6:9], v96
	ds_read_b128 v[119:122], v96 offset:57344
	ds_read_b128 v[14:17], v96 offset:12288
	;; [unrolled: 1-line block ×17, first 2 shown]
	buffer_store_dword v253, off, s[36:39], 0 offset:2216 ; 4-byte Folded Spill
	s_waitcnt vmcnt(1) lgkmcnt(14)
	v_mul_f64 v[0:1], v[8:9], v[4:5]
	v_mul_f64 v[4:5], v[6:7], v[4:5]
	v_fma_f64 v[149:150], v[6:7], v[2:3], -v[0:1]
	buffer_load_dword v0, off, s[36:39], 0 offset:524 ; 4-byte Folded Reload
	v_fma_f64 v[151:152], v[8:9], v[2:3], v[4:5]
	ds_read_b128 v[8:11], v96 offset:6144
	s_waitcnt vmcnt(0)
	global_load_dwordx4 v[4:7], v0, s[6:7]
	s_waitcnt vmcnt(0) lgkmcnt(0)
	v_mul_f64 v[0:1], v[10:11], v[6:7]
	v_mul_f64 v[2:3], v[8:9], v[6:7]
	v_fma_f64 v[145:146], v[8:9], v[4:5], -v[0:1]
	buffer_load_dword v0, off, s[36:39], 0 offset:496 ; 4-byte Folded Reload
	v_fma_f64 v[147:148], v[10:11], v[4:5], v[2:3]
	s_waitcnt vmcnt(0)
	global_load_dwordx4 v[10:13], v0, s[6:7]
	s_waitcnt vmcnt(0)
	v_mul_f64 v[0:1], v[16:17], v[12:13]
	v_mul_f64 v[2:3], v[14:15], v[12:13]
	v_fma_f64 v[141:142], v[14:15], v[10:11], -v[0:1]
	buffer_load_dword v0, off, s[36:39], 0 offset:508 ; 4-byte Folded Reload
	v_fma_f64 v[143:144], v[16:17], v[10:11], v[2:3]
	s_waitcnt vmcnt(0)
	global_load_dwordx4 v[16:19], v0, s[6:7]
	s_waitcnt vmcnt(0)
	;; [unrolled: 8-line block ×3, first 2 shown]
	v_mul_f64 v[0:1], v[28:29], v[24:25]
	v_mul_f64 v[2:3], v[26:27], v[24:25]
	v_fma_f64 v[133:134], v[26:27], v[22:23], -v[0:1]
	v_or_b32_e32 v0, 0x7800, v96
	v_fma_f64 v[135:136], v[28:29], v[22:23], v[2:3]
	global_load_dwordx4 v[28:31], v0, s[6:7]
	ds_read_b128 v[20:23], v96 offset:34816
	s_waitcnt vmcnt(0)
	v_mul_f64 v[0:1], v[34:35], v[30:31]
	v_mul_f64 v[2:3], v[32:33], v[30:31]
	v_fma_f64 v[129:130], v[32:33], v[28:29], -v[0:1]
	v_or_b32_e32 v0, 0x9000, v96
	v_fma_f64 v[131:132], v[34:35], v[28:29], v[2:3]
	global_load_dwordx4 v[34:37], v0, s[6:7]
	s_waitcnt vmcnt(0)
	v_mul_f64 v[0:1], v[40:41], v[36:37]
	v_mul_f64 v[2:3], v[38:39], v[36:37]
	v_fma_f64 v[125:126], v[38:39], v[34:35], -v[0:1]
	v_or_b32_e32 v0, 0xa800, v96
	v_fma_f64 v[127:128], v[40:41], v[34:35], v[2:3]
	global_load_dwordx4 v[40:43], v0, s[6:7]
	ds_read_b128 v[32:35], v96 offset:53248
	s_waitcnt vmcnt(0)
	v_mul_f64 v[0:1], v[46:47], v[42:43]
	v_mul_f64 v[2:3], v[44:45], v[42:43]
	v_fma_f64 v[42:43], v[44:45], v[40:41], -v[0:1]
	v_or_b32_e32 v0, 0xc000, v96
	v_fma_f64 v[44:45], v[46:47], v[40:41], v[2:3]
	global_load_dwordx4 v[46:49], v0, s[6:7]
	s_waitcnt vmcnt(0)
	v_mul_f64 v[0:1], v[52:53], v[48:49]
	v_mul_f64 v[2:3], v[50:51], v[48:49]
	v_fma_f64 v[48:49], v[50:51], v[46:47], -v[0:1]
	v_or_b32_e32 v0, 0xd800, v96
	v_fma_f64 v[50:51], v[52:53], v[46:47], v[2:3]
	global_load_dwordx4 v[52:55], v0, s[6:7]
	s_waitcnt vmcnt(0)
	v_mul_f64 v[0:1], v[58:59], v[54:55]
	v_mul_f64 v[2:3], v[56:57], v[54:55]
	v_fma_f64 v[54:55], v[56:57], v[52:53], -v[0:1]
	v_fma_f64 v[56:57], v[58:59], v[52:53], v[2:3]
	global_load_dwordx4 v[58:61], v96, s[6:7] offset:2048
	s_waitcnt vmcnt(0)
	v_mul_f64 v[0:1], v[64:65], v[60:61]
	v_mul_f64 v[2:3], v[62:63], v[60:61]
	v_fma_f64 v[60:61], v[62:63], v[58:59], -v[0:1]
	buffer_load_dword v0, off, s[36:39], 0 offset:488 ; 4-byte Folded Reload
	v_fma_f64 v[62:63], v[64:65], v[58:59], v[2:3]
	s_waitcnt vmcnt(0)
	global_load_dwordx4 v[64:67], v0, s[6:7]
	s_waitcnt vmcnt(0)
	v_mul_f64 v[0:1], v[70:71], v[66:67]
	v_mul_f64 v[2:3], v[68:69], v[66:67]
	v_fma_f64 v[66:67], v[68:69], v[64:65], -v[0:1]
	buffer_load_dword v0, off, s[36:39], 0 offset:500 ; 4-byte Folded Reload
	v_fma_f64 v[68:69], v[70:71], v[64:65], v[2:3]
	s_waitcnt vmcnt(0)
	global_load_dwordx4 v[70:73], v0, s[6:7]
	s_waitcnt vmcnt(0)
	v_mul_f64 v[0:1], v[76:77], v[72:73]
	v_mul_f64 v[2:3], v[74:75], v[72:73]
	v_fma_f64 v[72:73], v[74:75], v[70:71], -v[0:1]
	buffer_load_dword v0, off, s[36:39], 0 offset:504 ; 4-byte Folded Reload
	v_fma_f64 v[74:75], v[76:77], v[70:71], v[2:3]
	s_waitcnt vmcnt(0)
	global_load_dwordx4 v[76:79], v0, s[6:7]
	s_waitcnt vmcnt(0)
	v_mul_f64 v[0:1], v[82:83], v[78:79]
	v_mul_f64 v[2:3], v[80:81], v[78:79]
	v_fma_f64 v[78:79], v[80:81], v[76:77], -v[0:1]
	buffer_load_dword v0, off, s[36:39], 0 offset:512 ; 4-byte Folded Reload
	v_fma_f64 v[80:81], v[82:83], v[76:77], v[2:3]
	s_waitcnt vmcnt(0)
	global_load_dwordx4 v[82:85], v0, s[6:7]
	s_waitcnt vmcnt(0)
	v_mul_f64 v[0:1], v[88:89], v[84:85]
	v_mul_f64 v[2:3], v[86:87], v[84:85]
	v_fma_f64 v[84:85], v[86:87], v[82:83], -v[0:1]
	v_or_b32_e32 v0, 0x8000, v96
	v_fma_f64 v[86:87], v[88:89], v[82:83], v[2:3]
	global_load_dwordx4 v[88:91], v0, s[6:7]
	s_waitcnt vmcnt(0)
	v_mul_f64 v[0:1], v[94:95], v[90:91]
	v_mul_f64 v[2:3], v[92:93], v[90:91]
	v_fma_f64 v[90:91], v[92:93], v[88:89], -v[0:1]
	v_or_b32_e32 v0, 0x9800, v96
	global_load_dwordx4 v[97:100], v0, s[6:7]
	v_fma_f64 v[92:93], v[94:95], v[88:89], v[2:3]
	s_waitcnt vmcnt(0)
	v_mul_f64 v[0:1], v[103:104], v[99:100]
	v_mul_f64 v[2:3], v[101:102], v[99:100]
	v_fma_f64 v[99:100], v[101:102], v[97:98], -v[0:1]
	v_or_b32_e32 v0, 0xb000, v96
	v_fma_f64 v[101:102], v[103:104], v[97:98], v[2:3]
	global_load_dwordx4 v[103:106], v0, s[6:7]
	s_waitcnt vmcnt(0)
	v_mul_f64 v[0:1], v[109:110], v[105:106]
	v_mul_f64 v[2:3], v[107:108], v[105:106]
	v_fma_f64 v[105:106], v[107:108], v[103:104], -v[0:1]
	v_or_b32_e32 v0, 0xc800, v96
	v_fma_f64 v[107:108], v[109:110], v[103:104], v[2:3]
	global_load_dwordx4 v[109:112], v0, s[6:7]
	;; [unrolled: 7-line block ×3, first 2 shown]
	s_waitcnt vmcnt(0)
	v_mul_f64 v[0:1], v[121:122], v[117:118]
	v_mul_f64 v[2:3], v[119:120], v[117:118]
	v_fma_f64 v[117:118], v[119:120], v[115:116], -v[0:1]
	buffer_load_dword v0, off, s[36:39], 0 offset:516 ; 4-byte Folded Reload
	v_fma_f64 v[119:120], v[121:122], v[115:116], v[2:3]
	s_waitcnt vmcnt(0)
	global_load_dwordx4 v[121:124], v0, s[6:7]
	ds_read_b128 v[0:3], v96 offset:4096
	s_waitcnt vmcnt(0) lgkmcnt(0)
	v_mul_f64 v[4:5], v[2:3], v[123:124]
	v_mul_f64 v[6:7], v[0:1], v[123:124]
	v_fma_f64 v[36:37], v[0:1], v[121:122], -v[4:5]
	buffer_load_dword v0, off, s[36:39], 0 offset:520 ; 4-byte Folded Reload
	v_fma_f64 v[38:39], v[2:3], v[121:122], v[6:7]
	s_waitcnt vmcnt(0)
	global_load_dwordx4 v[121:124], v0, s[6:7]
	ds_read_b128 v[0:3], v96 offset:10240
	s_waitcnt vmcnt(0) lgkmcnt(0)
	v_mul_f64 v[4:5], v[2:3], v[123:124]
	v_mul_f64 v[6:7], v[0:1], v[123:124]
	v_fma_f64 v[28:29], v[0:1], v[121:122], -v[4:5]
	buffer_load_dword v0, off, s[36:39], 0 offset:528 ; 4-byte Folded Reload
	v_fma_f64 v[30:31], v[2:3], v[121:122], v[6:7]
	ds_read_b128 v[121:124], v96 offset:16384
	s_waitcnt vmcnt(0)
	global_load_dwordx4 v[8:11], v0, s[6:7]
	s_waitcnt vmcnt(0) lgkmcnt(0)
	v_mul_f64 v[0:1], v[123:124], v[10:11]
	v_mul_f64 v[2:3], v[121:122], v[10:11]
	v_fma_f64 v[121:122], v[121:122], v[8:9], -v[0:1]
	buffer_load_dword v0, off, s[36:39], 0 offset:532 ; 4-byte Folded Reload
	v_fma_f64 v[123:124], v[123:124], v[8:9], v[2:3]
	s_waitcnt vmcnt(0)
	global_load_dwordx4 v[8:11], v0, s[6:7]
	ds_read_b128 v[0:3], v96 offset:22528
	s_waitcnt vmcnt(0) lgkmcnt(0)
	v_mul_f64 v[4:5], v[2:3], v[10:11]
	v_mul_f64 v[6:7], v[0:1], v[10:11]
	v_fma_f64 v[24:25], v[0:1], v[8:9], -v[4:5]
	buffer_load_dword v0, off, s[36:39], 0 offset:536 ; 4-byte Folded Reload
	v_fma_f64 v[26:27], v[2:3], v[8:9], v[6:7]
	s_waitcnt vmcnt(0)
	global_load_dwordx4 v[8:11], v0, s[6:7]
	ds_read_b128 v[0:3], v96 offset:28672
	s_waitcnt vmcnt(0) lgkmcnt(0)
	v_mul_f64 v[4:5], v[2:3], v[10:11]
	v_mul_f64 v[6:7], v[0:1], v[10:11]
	v_fma_f64 v[16:17], v[0:1], v[8:9], -v[4:5]
	v_or_b32_e32 v0, 0x8800, v96
	v_fma_f64 v[18:19], v[2:3], v[8:9], v[6:7]
	global_load_dwordx4 v[8:11], v0, s[6:7]
	s_waitcnt vmcnt(0)
	v_mul_f64 v[0:1], v[22:23], v[10:11]
	v_mul_f64 v[2:3], v[20:21], v[10:11]
	v_fma_f64 v[20:21], v[20:21], v[8:9], -v[0:1]
	v_or_b32_e32 v0, 0xa000, v96
	v_fma_f64 v[22:23], v[22:23], v[8:9], v[2:3]
	global_load_dwordx4 v[8:11], v0, s[6:7]
	ds_read_b128 v[0:3], v96 offset:40960
	s_waitcnt vmcnt(0) lgkmcnt(0)
	v_mul_f64 v[4:5], v[2:3], v[10:11]
	v_mul_f64 v[6:7], v[0:1], v[10:11]
	v_fma_f64 v[12:13], v[0:1], v[8:9], -v[4:5]
	v_or_b32_e32 v0, 0xb800, v96
	v_fma_f64 v[14:15], v[2:3], v[8:9], v[6:7]
	global_load_dwordx4 v[8:11], v0, s[6:7]
	ds_read_b128 v[0:3], v96 offset:47104
	s_waitcnt vmcnt(0) lgkmcnt(0)
	v_mul_f64 v[4:5], v[2:3], v[10:11]
	v_mul_f64 v[6:7], v[0:1], v[10:11]
	v_fma_f64 v[4:5], v[0:1], v[8:9], -v[4:5]
	v_or_b32_e32 v0, 0xd000, v96
	v_fma_f64 v[6:7], v[2:3], v[8:9], v[6:7]
	global_load_dwordx4 v[8:11], v0, s[6:7]
	s_waitcnt vmcnt(0)
	v_mul_f64 v[0:1], v[34:35], v[10:11]
	v_mul_f64 v[2:3], v[32:33], v[10:11]
	v_fma_f64 v[32:33], v[32:33], v[8:9], -v[0:1]
	v_or_b32_e32 v0, 0xe800, v96
	v_fma_f64 v[34:35], v[34:35], v[8:9], v[2:3]
	global_load_dwordx4 v[8:11], v0, s[6:7]
	ds_read_b128 v[0:3], v96 offset:59392
	s_waitcnt vmcnt(0) lgkmcnt(0)
	v_mul_f64 v[40:41], v[2:3], v[10:11]
	v_mul_f64 v[10:11], v[0:1], v[10:11]
	v_fma_f64 v[0:1], v[0:1], v[8:9], -v[40:41]
	v_fma_f64 v[2:3], v[2:3], v[8:9], v[10:11]
	ds_write_b128 v96, v[149:152]
	ds_write_b128 v96, v[145:148] offset:6144
	ds_write_b128 v96, v[141:144] offset:12288
	;; [unrolled: 1-line block ×29, first 2 shown]
	s_waitcnt lgkmcnt(0)
	s_barrier
	ds_read_b128 v[0:3], v96 offset:12288
	ds_read_b128 v[4:7], v96
	ds_read_b128 v[8:11], v96 offset:24576
	s_waitcnt lgkmcnt(1)
	v_add_f64 v[12:13], v[4:5], v[0:1]
	s_waitcnt lgkmcnt(0)
	v_add_f64 v[24:25], v[0:1], -v[8:9]
	v_add_f64 v[26:27], v[8:9], -v[0:1]
	;; [unrolled: 1-line block ×4, first 2 shown]
	v_add_f64 v[16:17], v[12:13], v[8:9]
	v_add_f64 v[12:13], v[6:7], v[2:3]
	;; [unrolled: 1-line block ×3, first 2 shown]
	ds_read_b128 v[12:15], v96 offset:36864
	s_waitcnt lgkmcnt(0)
	v_add_f64 v[20:21], v[8:9], v[12:13]
	v_add_f64 v[22:23], v[10:11], -v[14:15]
	v_add_f64 v[28:29], v[10:11], v[14:15]
	v_add_f64 v[30:31], v[8:9], -v[12:13]
	ds_read_b128 v[8:11], v96 offset:49152
	v_fma_f64 v[20:21], v[20:21], -0.5, v[4:5]
	s_waitcnt lgkmcnt(0)
	v_add_f64 v[36:37], v[2:3], -v[10:11]
	v_add_f64 v[38:39], v[0:1], v[8:9]
	v_add_f64 v[72:73], v[0:1], -v[8:9]
	v_add_f64 v[40:41], v[2:3], v[10:11]
	v_add_f64 v[0:1], v[16:17], v[12:13]
	;; [unrolled: 1-line block ×3, first 2 shown]
	v_add_f64 v[42:43], v[8:9], -v[12:13]
	v_add_f64 v[56:57], v[12:13], -v[8:9]
	;; [unrolled: 1-line block ×4, first 2 shown]
	v_fma_f64 v[4:5], v[38:39], -0.5, v[4:5]
	v_fma_f64 v[28:29], v[28:29], -0.5, v[6:7]
	v_add_f64 v[44:45], v[0:1], v[8:9]
	v_add_f64 v[46:47], v[2:3], v[10:11]
	ds_read_b128 v[0:3], v96 offset:18432
	ds_read_b128 v[8:11], v96 offset:6144
	;; [unrolled: 1-line block ×3, first 2 shown]
	v_fma_f64 v[6:7], v[40:41], -0.5, v[6:7]
	v_add_f64 v[26:27], v[26:27], v[56:57]
	s_waitcnt lgkmcnt(1)
	v_add_f64 v[16:17], v[8:9], v[0:1]
	s_waitcnt lgkmcnt(0)
	v_add_f64 v[60:61], v[0:1], -v[12:13]
	v_add_f64 v[62:63], v[12:13], -v[0:1]
	;; [unrolled: 1-line block ×4, first 2 shown]
	v_add_f64 v[48:49], v[16:17], v[12:13]
	v_add_f64 v[16:17], v[10:11], v[2:3]
	v_add_f64 v[50:51], v[16:17], v[14:15]
	ds_read_b128 v[16:19], v96 offset:43008
	s_waitcnt lgkmcnt(0)
	v_add_f64 v[64:65], v[14:15], v[18:19]
	v_add_f64 v[48:49], v[48:49], v[16:17]
	;; [unrolled: 1-line block ×3, first 2 shown]
	v_add_f64 v[74:75], v[14:15], -v[18:19]
	v_add_f64 v[76:77], v[12:13], -v[16:17]
	ds_read_b128 v[12:15], v96 offset:55296
	v_add_f64 v[50:51], v[50:51], v[18:19]
	v_fma_f64 v[84:85], v[64:65], -0.5, v[10:11]
	s_waitcnt lgkmcnt(0)
	v_add_f64 v[70:71], v[0:1], v[12:13]
	v_add_f64 v[0:1], v[0:1], -v[12:13]
	v_add_f64 v[80:81], v[12:13], -v[16:17]
	;; [unrolled: 1-line block ×3, first 2 shown]
	v_add_f64 v[12:13], v[48:49], v[12:13]
	v_add_f64 v[78:79], v[2:3], -v[14:15]
	v_add_f64 v[2:3], v[2:3], v[14:15]
	v_add_f64 v[82:83], v[14:15], -v[18:19]
	v_fma_f64 v[38:39], v[54:55], -0.5, v[8:9]
	v_add_f64 v[18:19], v[18:19], -v[14:15]
	v_add_f64 v[14:15], v[50:51], v[14:15]
	v_fma_f64 v[8:9], v[70:71], -0.5, v[8:9]
	v_add_f64 v[48:49], v[44:45], v[12:13]
	v_add_f64 v[44:45], v[44:45], -v[12:13]
	v_add_f64 v[12:13], v[32:33], v[52:53]
	v_fma_f64 v[32:33], v[0:1], s[14:15], v[84:85]
	v_fma_f64 v[2:3], v[2:3], -0.5, v[10:11]
	v_add_f64 v[10:11], v[24:25], v[42:43]
	v_add_f64 v[24:25], v[66:67], v[82:83]
	v_fma_f64 v[40:41], v[78:79], s[18:19], v[38:39]
	v_add_f64 v[50:51], v[46:47], v[14:15]
	v_add_f64 v[46:47], v[46:47], -v[14:15]
	v_add_f64 v[14:15], v[60:61], v[80:81]
	v_fma_f64 v[32:33], v[76:77], s[12:13], v[32:33]
	v_fma_f64 v[52:53], v[72:73], s[14:15], v[28:29]
	v_add_f64 v[18:19], v[68:69], v[18:19]
	v_fma_f64 v[56:57], v[74:75], s[14:15], v[8:9]
	v_fma_f64 v[40:41], v[74:75], s[16:17], v[40:41]
	;; [unrolled: 3-line block ×3, first 2 shown]
	v_fma_f64 v[52:53], v[30:31], s[12:13], v[52:53]
	v_fma_f64 v[56:57], v[78:79], s[16:17], v[56:57]
	;; [unrolled: 1-line block ×4, first 2 shown]
	v_mul_f64 v[42:43], v[32:33], s[16:17]
	v_fma_f64 v[60:61], v[12:13], s[20:21], v[52:53]
	v_fma_f64 v[56:57], v[16:17], s[20:21], v[56:57]
	;; [unrolled: 1-line block ×4, first 2 shown]
	v_mul_f64 v[40:41], v[40:41], s[12:13]
	v_fma_f64 v[32:33], v[32:33], s[26:27], v[40:41]
	v_fma_f64 v[40:41], v[36:37], s[18:19], v[20:21]
	v_add_f64 v[54:55], v[60:61], v[32:33]
	v_fma_f64 v[40:41], v[22:23], s[16:17], v[40:41]
	v_fma_f64 v[40:41], v[10:11], s[20:21], v[40:41]
	v_add_f64 v[52:53], v[40:41], v[42:43]
	v_add_f64 v[40:41], v[40:41], -v[42:43]
	v_add_f64 v[42:43], v[60:61], -v[32:33]
	v_add_f64 v[32:33], v[34:35], v[58:59]
	v_fma_f64 v[34:35], v[76:77], s[18:19], v[2:3]
	v_fma_f64 v[2:3], v[76:77], s[14:15], v[2:3]
	v_fma_f64 v[34:35], v[0:1], s[12:13], v[34:35]
	v_fma_f64 v[2:3], v[0:1], s[16:17], v[2:3]
	v_fma_f64 v[0:1], v[0:1], s[18:19], v[84:85]
	v_fma_f64 v[34:35], v[18:19], s[20:21], v[34:35]
	v_fma_f64 v[2:3], v[18:19], s[20:21], v[2:3]
	v_fma_f64 v[0:1], v[76:77], s[16:17], v[0:1]
	v_mul_f64 v[58:59], v[34:35], s[18:19]
	v_mul_f64 v[34:35], v[34:35], s[20:21]
	;; [unrolled: 1-line block ×4, first 2 shown]
	v_fma_f64 v[0:1], v[24:25], s[20:21], v[0:1]
	v_fma_f64 v[60:61], v[56:57], s[20:21], v[58:59]
	v_fma_f64 v[58:59], v[30:31], s[18:19], v[6:7]
	v_fma_f64 v[6:7], v[30:31], s[14:15], v[6:7]
	v_fma_f64 v[34:35], v[56:57], s[14:15], v[34:35]
	v_fma_f64 v[56:57], v[22:23], s[14:15], v[4:5]
	v_fma_f64 v[4:5], v[22:23], s[18:19], v[4:5]
	v_fma_f64 v[2:3], v[8:9], s[14:15], v[2:3]
	v_fma_f64 v[16:17], v[8:9], s[24:25], v[16:17]
	v_mul_f64 v[8:9], v[0:1], s[16:17]
	v_fma_f64 v[58:59], v[72:73], s[12:13], v[58:59]
	v_fma_f64 v[6:7], v[72:73], s[16:17], v[6:7]
	v_mul_f64 v[0:1], v[0:1], s[22:23]
	v_fma_f64 v[56:57], v[36:37], s[16:17], v[56:57]
	v_fma_f64 v[4:5], v[36:37], s[12:13], v[4:5]
	;; [unrolled: 1-line block ×6, first 2 shown]
	v_add_f64 v[58:59], v[64:65], v[34:35]
	v_add_f64 v[66:67], v[6:7], v[2:3]
	v_add_f64 v[70:71], v[6:7], -v[2:3]
	v_fma_f64 v[6:7], v[78:79], s[14:15], v[38:39]
	v_add_f64 v[56:57], v[62:63], v[60:61]
	v_add_f64 v[60:61], v[62:63], -v[60:61]
	v_add_f64 v[62:63], v[64:65], -v[34:35]
	v_add_f64 v[64:65], v[4:5], v[16:17]
	v_add_f64 v[68:69], v[4:5], -v[16:17]
	v_fma_f64 v[2:3], v[36:37], s[14:15], v[20:21]
	v_fma_f64 v[4:5], v[72:73], s[18:19], v[28:29]
	;; [unrolled: 1-line block ×10, first 2 shown]
	v_add_f64 v[72:73], v[2:3], v[8:9]
	v_add_f64 v[74:75], v[4:5], v[0:1]
	v_add_f64 v[76:77], v[2:3], -v[8:9]
	v_add_f64 v[78:79], v[4:5], -v[0:1]
	ds_read_b128 v[80:83], v96 offset:2048
	ds_read_b128 v[84:87], v96 offset:14336
	ds_read_b128 v[88:91], v96 offset:26624
	ds_read_b128 v[92:95], v96 offset:38912
	ds_read_b128 v[97:100], v96 offset:51200
	ds_read_b128 v[36:39], v96 offset:4096
	ds_read_b128 v[4:7], v96 offset:16384
	ds_read_b128 v[0:3], v96 offset:28672
	ds_read_b128 v[8:11], v96 offset:40960
	ds_read_b128 v[12:15], v96 offset:53248
	ds_read_b128 v[101:104], v96 offset:8192
	ds_read_b128 v[32:35], v96 offset:10240
	ds_read_b128 v[105:108], v96 offset:20480
	ds_read_b128 v[20:23], v96 offset:22528
	ds_read_b128 v[109:112], v96 offset:32768
	ds_read_b128 v[16:19], v96 offset:34816
	ds_read_b128 v[113:116], v96 offset:45056
	ds_read_b128 v[24:27], v96 offset:47104
	ds_read_b128 v[117:120], v96 offset:57344
	ds_read_b128 v[28:31], v96 offset:59392
	s_waitcnt lgkmcnt(0)
	s_barrier
	ds_write_b128 v255, v[48:51]
	ds_write_b128 v255, v[52:55] offset:16
	ds_write_b128 v255, v[56:59] offset:32
	;; [unrolled: 1-line block ×9, first 2 shown]
	v_add_f64 v[40:41], v[80:81], v[84:85]
	v_add_f64 v[42:43], v[82:83], v[86:87]
	;; [unrolled: 1-line block ×3, first 2 shown]
	v_add_f64 v[74:75], v[88:89], -v[92:93]
	v_add_f64 v[60:61], v[97:98], -v[92:93]
	;; [unrolled: 1-line block ×5, first 2 shown]
	v_add_f64 v[40:41], v[40:41], v[88:89]
	v_add_f64 v[42:43], v[42:43], v[90:91]
	v_add_f64 v[56:57], v[88:89], -v[84:85]
	v_add_f64 v[46:47], v[90:91], v[94:95]
	v_add_f64 v[50:51], v[86:87], -v[90:91]
	v_add_f64 v[58:59], v[90:91], -v[86:87]
	;; [unrolled: 1-line block ×3, first 2 shown]
	v_add_f64 v[52:53], v[84:85], v[97:98]
	v_add_f64 v[40:41], v[40:41], v[92:93]
	;; [unrolled: 1-line block ×4, first 2 shown]
	v_add_f64 v[78:79], v[84:85], -v[97:98]
	v_add_f64 v[54:55], v[86:87], v[99:100]
	v_add_f64 v[64:65], v[99:100], -v[94:95]
	v_add_f64 v[66:67], v[94:95], -v[99:100]
	v_add_f64 v[84:85], v[109:110], v[113:114]
	v_add_f64 v[68:69], v[40:41], v[97:98]
	;; [unrolled: 1-line block ×5, first 2 shown]
	v_add_f64 v[86:87], v[111:112], -v[115:116]
	v_add_f64 v[88:89], v[105:106], -v[109:110]
	;; [unrolled: 1-line block ×6, first 2 shown]
	v_add_f64 v[40:41], v[40:41], v[109:110]
	v_add_f64 v[42:43], v[42:43], v[111:112]
	v_add_f64 v[109:110], v[107:108], -v[119:120]
	v_add_f64 v[111:112], v[105:106], v[117:118]
	v_add_f64 v[105:106], v[105:106], -v[117:118]
	v_add_f64 v[107:108], v[107:108], v[119:120]
	v_fma_f64 v[92:93], v[92:93], -0.5, v[103:104]
	v_add_f64 v[123:124], v[119:120], -v[115:116]
	v_fma_f64 v[84:85], v[84:85], -0.5, v[101:102]
	v_add_f64 v[121:122], v[117:118], -v[113:114]
	v_fma_f64 v[125:126], v[44:45], -0.5, v[80:81]
	v_fma_f64 v[101:102], v[111:112], -0.5, v[101:102]
	v_add_f64 v[111:112], v[50:51], v[64:65]
	v_fma_f64 v[103:104], v[107:108], -0.5, v[103:104]
	v_add_f64 v[107:108], v[48:49], v[60:61]
	v_fma_f64 v[48:49], v[105:106], s[14:15], v[92:93]
	v_add_f64 v[97:98], v[97:98], v[123:124]
	v_fma_f64 v[50:51], v[109:110], s[18:19], v[84:85]
	v_add_f64 v[88:89], v[88:89], v[121:122]
	v_fma_f64 v[80:81], v[52:53], -0.5, v[80:81]
	v_fma_f64 v[127:128], v[46:47], -0.5, v[82:83]
	;; [unrolled: 1-line block ×3, first 2 shown]
	v_add_f64 v[42:43], v[42:43], v[115:116]
	v_fma_f64 v[48:49], v[94:95], s[12:13], v[48:49]
	v_add_f64 v[40:41], v[40:41], v[113:114]
	v_fma_f64 v[50:51], v[86:87], s[16:17], v[50:51]
	v_add_f64 v[115:116], v[115:116], -v[119:120]
	v_add_f64 v[113:114], v[113:114], -v[117:118]
	v_add_f64 v[66:67], v[58:59], v[66:67]
	v_fma_f64 v[58:59], v[86:87], s[14:15], v[101:102]
	v_add_f64 v[119:120], v[42:43], v[119:120]
	v_fma_f64 v[48:49], v[97:98], s[20:21], v[48:49]
	;; [unrolled: 2-line block ×3, first 2 shown]
	v_fma_f64 v[58:59], v[109:110], s[16:17], v[58:59]
	v_add_f64 v[42:43], v[70:71], v[119:120]
	v_mul_f64 v[52:53], v[48:49], s[16:17]
	v_add_f64 v[46:47], v[70:71], -v[119:120]
	v_add_f64 v[70:71], v[99:100], v[115:116]
	v_add_f64 v[40:41], v[68:69], v[117:118]
	v_add_f64 v[44:45], v[68:69], -v[117:118]
	v_add_f64 v[68:69], v[90:91], v[113:114]
	v_fma_f64 v[52:53], v[50:51], s[26:27], v[52:53]
	v_mul_f64 v[50:51], v[50:51], s[12:13]
	v_fma_f64 v[58:59], v[68:69], s[20:21], v[58:59]
	v_fma_f64 v[54:55], v[48:49], s[26:27], v[50:51]
	;; [unrolled: 1-line block ×8, first 2 shown]
	v_add_f64 v[50:51], v[64:65], v[54:55]
	v_add_f64 v[54:55], v[64:65], -v[54:55]
	v_add_f64 v[64:65], v[56:57], v[62:63]
	v_fma_f64 v[56:57], v[94:95], s[18:19], v[103:104]
	v_add_f64 v[48:49], v[60:61], v[52:53]
	v_add_f64 v[52:53], v[60:61], -v[52:53]
	v_fma_f64 v[56:57], v[105:106], s[12:13], v[56:57]
	v_fma_f64 v[56:57], v[70:71], s[20:21], v[56:57]
	v_mul_f64 v[60:61], v[56:57], s[18:19]
	v_mul_f64 v[56:57], v[56:57], s[20:21]
	v_fma_f64 v[60:61], v[58:59], s[20:21], v[60:61]
	v_fma_f64 v[62:63], v[58:59], s[14:15], v[56:57]
	;; [unrolled: 1-line block ×14, first 2 shown]
	v_add_f64 v[56:57], v[90:91], v[60:61]
	v_add_f64 v[60:61], v[90:91], -v[60:61]
	v_fma_f64 v[64:65], v[78:79], s[16:17], v[64:65]
	v_fma_f64 v[78:79], v[78:79], s[18:19], v[127:128]
	v_add_f64 v[58:59], v[99:100], v[62:63]
	v_add_f64 v[62:63], v[99:100], -v[62:63]
	v_fma_f64 v[82:83], v[66:67], s[20:21], v[64:65]
	v_fma_f64 v[64:65], v[94:95], s[14:15], v[103:104]
	;; [unrolled: 1-line block ×8, first 2 shown]
	v_mul_f64 v[68:69], v[64:65], s[18:19]
	v_mul_f64 v[64:65], v[64:65], s[24:25]
	v_fma_f64 v[68:69], v[66:67], s[24:25], v[68:69]
	v_fma_f64 v[70:71], v[66:67], s[14:15], v[64:65]
	v_add_f64 v[64:65], v[80:81], v[68:69]
	v_add_f64 v[68:69], v[80:81], -v[68:69]
	v_fma_f64 v[80:81], v[105:106], s[18:19], v[92:93]
	v_add_f64 v[66:67], v[82:83], v[70:71]
	v_add_f64 v[70:71], v[82:83], -v[70:71]
	v_fma_f64 v[82:83], v[109:110], s[14:15], v[84:85]
	v_fma_f64 v[80:81], v[94:95], s[16:17], v[80:81]
	;; [unrolled: 1-line block ×7, first 2 shown]
	v_mul_f64 v[74:75], v[78:79], s[16:17]
	v_mul_f64 v[76:77], v[78:79], s[22:23]
	v_fma_f64 v[78:79], v[72:73], s[22:23], v[74:75]
	v_fma_f64 v[84:85], v[72:73], s[12:13], v[76:77]
	v_add_f64 v[72:73], v[80:81], v[78:79]
	v_add_f64 v[74:75], v[82:83], v[84:85]
	v_add_f64 v[76:77], v[80:81], -v[78:79]
	v_add_f64 v[78:79], v[82:83], -v[84:85]
	ds_write_b128 v254, v[40:43]
	ds_write_b128 v254, v[48:51] offset:16
	ds_write_b128 v254, v[56:59] offset:32
	;; [unrolled: 1-line block ×9, first 2 shown]
	v_add_f64 v[40:41], v[36:37], v[4:5]
	v_add_f64 v[42:43], v[38:39], v[6:7]
	;; [unrolled: 1-line block ×3, first 2 shown]
	v_add_f64 v[46:47], v[2:3], -v[10:11]
	v_add_f64 v[48:49], v[4:5], -v[0:1]
	;; [unrolled: 1-line block ×3, first 2 shown]
	v_add_f64 v[52:53], v[2:3], v[10:11]
	v_add_f64 v[54:55], v[0:1], -v[8:9]
	v_add_f64 v[40:41], v[40:41], v[0:1]
	v_add_f64 v[42:43], v[42:43], v[2:3]
	v_add_f64 v[56:57], v[6:7], -v[2:3]
	v_add_f64 v[58:59], v[2:3], -v[6:7]
	;; [unrolled: 1-line block ×3, first 2 shown]
	v_add_f64 v[0:1], v[4:5], v[12:13]
	v_add_f64 v[62:63], v[4:5], -v[12:13]
	v_add_f64 v[2:3], v[6:7], v[14:15]
	v_add_f64 v[4:5], v[40:41], v[8:9]
	;; [unrolled: 1-line block ×3, first 2 shown]
	v_add_f64 v[40:41], v[12:13], -v[8:9]
	v_add_f64 v[42:43], v[8:9], -v[12:13]
	;; [unrolled: 1-line block ×4, first 2 shown]
	v_add_f64 v[10:11], v[32:33], v[20:21]
	v_add_f64 v[72:73], v[18:19], v[26:27]
	;; [unrolled: 1-line block ×6, first 2 shown]
	v_add_f64 v[66:67], v[18:19], -v[26:27]
	v_add_f64 v[68:69], v[20:21], -v[16:17]
	v_add_f64 v[10:11], v[10:11], v[16:17]
	v_add_f64 v[70:71], v[16:17], -v[20:21]
	v_add_f64 v[74:75], v[16:17], -v[24:25]
	v_add_f64 v[12:13], v[12:13], v[18:19]
	v_add_f64 v[16:17], v[22:23], -v[18:19]
	v_add_f64 v[18:19], v[18:19], -v[22:23]
	;; [unrolled: 1-line block ×3, first 2 shown]
	v_add_f64 v[78:79], v[20:21], v[28:29]
	v_add_f64 v[10:11], v[10:11], v[24:25]
	v_add_f64 v[80:81], v[20:21], -v[28:29]
	v_add_f64 v[20:21], v[22:23], v[30:31]
	v_add_f64 v[12:13], v[12:13], v[26:27]
	v_add_f64 v[22:23], v[28:29], -v[24:25]
	v_add_f64 v[24:25], v[24:25], -v[28:29]
	v_fma_f64 v[44:45], v[44:45], -0.5, v[36:37]
	v_add_f64 v[82:83], v[30:31], -v[26:27]
	v_add_f64 v[10:11], v[10:11], v[28:29]
	v_fma_f64 v[28:29], v[0:1], -0.5, v[36:37]
	v_fma_f64 v[36:37], v[52:53], -0.5, v[38:39]
	;; [unrolled: 1-line block ×3, first 2 shown]
	v_add_f64 v[26:27], v[26:27], -v[30:31]
	v_add_f64 v[12:13], v[12:13], v[30:31]
	v_fma_f64 v[30:31], v[2:3], -0.5, v[38:39]
	v_fma_f64 v[38:39], v[14:15], -0.5, v[32:33]
	v_add_f64 v[40:41], v[48:49], v[40:41]
	v_add_f64 v[48:49], v[56:57], v[8:9]
	;; [unrolled: 1-line block ×3, first 2 shown]
	v_fma_f64 v[8:9], v[80:81], s[14:15], v[52:53]
	v_add_f64 v[4:5], v[4:5], -v[10:11]
	v_add_f64 v[56:57], v[68:69], v[22:23]
	v_add_f64 v[68:69], v[16:17], v[82:83]
	v_fma_f64 v[10:11], v[76:77], s[18:19], v[38:39]
	v_add_f64 v[2:3], v[6:7], v[12:13]
	v_add_f64 v[6:7], v[6:7], -v[12:13]
	v_fma_f64 v[34:35], v[20:21], -0.5, v[34:35]
	v_fma_f64 v[8:9], v[74:75], s[12:13], v[8:9]
	v_fma_f64 v[32:33], v[78:79], -0.5, v[32:33]
	v_add_f64 v[26:27], v[18:19], v[26:27]
	v_add_f64 v[24:25], v[70:71], v[24:25]
	v_fma_f64 v[10:11], v[66:67], s[16:17], v[10:11]
	v_add_f64 v[42:43], v[50:51], v[42:43]
	v_add_f64 v[50:51], v[58:59], v[64:65]
	v_fma_f64 v[38:39], v[76:77], s[14:15], v[38:39]
	v_fma_f64 v[8:9], v[68:69], s[20:21], v[8:9]
	;; [unrolled: 1-line block ×6, first 2 shown]
	v_mul_f64 v[12:13], v[8:9], s[16:17]
	v_fma_f64 v[18:19], v[76:77], s[16:17], v[18:19]
	v_fma_f64 v[32:33], v[76:77], s[12:13], v[32:33]
	;; [unrolled: 1-line block ×3, first 2 shown]
	v_mul_f64 v[10:11], v[10:11], s[12:13]
	v_fma_f64 v[18:19], v[24:25], s[20:21], v[18:19]
	v_fma_f64 v[24:25], v[24:25], s[20:21], v[32:33]
	;; [unrolled: 1-line block ×11, first 2 shown]
	v_add_f64 v[8:9], v[16:17], v[12:13]
	v_add_f64 v[12:13], v[16:17], -v[12:13]
	v_fma_f64 v[16:17], v[74:75], s[18:19], v[34:35]
	v_fma_f64 v[34:35], v[74:75], s[14:15], v[34:35]
	v_add_f64 v[10:11], v[20:21], v[14:15]
	v_add_f64 v[14:15], v[20:21], -v[14:15]
	v_fma_f64 v[16:17], v[80:81], s[12:13], v[16:17]
	v_fma_f64 v[34:35], v[80:81], s[16:17], v[34:35]
	;; [unrolled: 1-line block ×4, first 2 shown]
	v_mul_f64 v[20:21], v[16:17], s[18:19]
	v_mul_f64 v[16:17], v[16:17], s[20:21]
	;; [unrolled: 1-line block ×4, first 2 shown]
	v_fma_f64 v[20:21], v[18:19], s[20:21], v[20:21]
	v_fma_f64 v[22:23], v[18:19], s[14:15], v[16:17]
	v_fma_f64 v[16:17], v[46:47], s[14:15], v[28:29]
	v_fma_f64 v[28:29], v[46:47], s[18:19], v[28:29]
	v_fma_f64 v[18:19], v[54:55], s[18:19], v[30:31]
	v_fma_f64 v[30:31], v[54:55], s[14:15], v[30:31]
	v_fma_f64 v[32:33], v[24:25], s[24:25], v[32:33]
	v_fma_f64 v[34:35], v[24:25], s[14:15], v[26:27]
	v_fma_f64 v[16:17], v[60:61], s[16:17], v[16:17]
	v_fma_f64 v[28:29], v[60:61], s[12:13], v[28:29]
	v_fma_f64 v[18:19], v[62:63], s[12:13], v[18:19]
	v_fma_f64 v[30:31], v[62:63], s[16:17], v[30:31]
	v_fma_f64 v[58:59], v[42:43], s[20:21], v[16:17]
	v_fma_f64 v[28:29], v[42:43], s[20:21], v[28:29]
	v_fma_f64 v[42:43], v[48:49], s[20:21], v[36:37]
	v_fma_f64 v[30:31], v[50:51], s[20:21], v[30:31]
	v_fma_f64 v[64:65], v[50:51], s[20:21], v[18:19]
	v_add_f64 v[16:17], v[58:59], v[20:21]
	v_add_f64 v[24:25], v[28:29], v[32:33]
	v_add_f64 v[28:29], v[28:29], -v[32:33]
	v_fma_f64 v[32:33], v[80:81], s[18:19], v[52:53]
	v_add_f64 v[26:27], v[30:31], v[34:35]
	v_add_f64 v[30:31], v[30:31], -v[34:35]
	v_fma_f64 v[34:35], v[60:61], s[14:15], v[44:45]
	v_add_f64 v[18:19], v[64:65], v[22:23]
	v_add_f64 v[20:21], v[58:59], -v[20:21]
	v_add_f64 v[22:23], v[64:65], -v[22:23]
	v_fma_f64 v[32:33], v[74:75], s[16:17], v[32:33]
	v_fma_f64 v[34:35], v[46:47], s[12:13], v[34:35]
	;; [unrolled: 1-line block ×5, first 2 shown]
	v_mul_f64 v[36:37], v[32:33], s[16:17]
	v_mul_f64 v[32:33], v[32:33], s[22:23]
	v_fma_f64 v[36:37], v[34:35], s[22:23], v[36:37]
	v_fma_f64 v[38:39], v[34:35], s[12:13], v[32:33]
	v_add_f64 v[32:33], v[40:41], v[36:37]
	v_add_f64 v[36:37], v[40:41], -v[36:37]
	buffer_load_dword v40, off, s[36:39], 0 offset:540 ; 4-byte Folded Reload
	v_add_f64 v[34:35], v[42:43], v[38:39]
	v_add_f64 v[38:39], v[42:43], -v[38:39]
	s_waitcnt vmcnt(0)
	ds_write_b128 v40, v[0:3]
	ds_write_b128 v40, v[8:11] offset:16
	ds_write_b128 v40, v[16:19] offset:32
	;; [unrolled: 1-line block ×9, first 2 shown]
	s_waitcnt lgkmcnt(0)
	s_barrier
	ds_read_b128 v[0:3], v96 offset:10240
	buffer_load_dword v6, off, s[36:39], 0 offset:672 ; 4-byte Folded Reload
	buffer_load_dword v7, off, s[36:39], 0 offset:676 ; 4-byte Folded Reload
	buffer_load_dword v8, off, s[36:39], 0 offset:680 ; 4-byte Folded Reload
	buffer_load_dword v9, off, s[36:39], 0 offset:684 ; 4-byte Folded Reload
	s_waitcnt vmcnt(0) lgkmcnt(0)
	v_mul_f64 v[4:5], v[8:9], v[2:3]
	v_fma_f64 v[76:77], v[6:7], v[0:1], v[4:5]
	v_mul_f64 v[0:1], v[8:9], v[0:1]
	v_fma_f64 v[78:79], v[6:7], v[2:3], -v[0:1]
	ds_read_b128 v[0:3], v96 offset:20480
	buffer_load_dword v6, off, s[36:39], 0 offset:656 ; 4-byte Folded Reload
	buffer_load_dword v7, off, s[36:39], 0 offset:660 ; 4-byte Folded Reload
	buffer_load_dword v8, off, s[36:39], 0 offset:664 ; 4-byte Folded Reload
	buffer_load_dword v9, off, s[36:39], 0 offset:668 ; 4-byte Folded Reload
	s_waitcnt vmcnt(0) lgkmcnt(0)
	v_mul_f64 v[4:5], v[8:9], v[2:3]
	v_fma_f64 v[80:81], v[6:7], v[0:1], v[4:5]
	v_mul_f64 v[0:1], v[8:9], v[0:1]
	v_fma_f64 v[82:83], v[6:7], v[2:3], -v[0:1]
	;; [unrolled: 10-line block ×25, first 2 shown]
	v_add_f64 v[68:69], v[80:81], v[88:89]
	ds_read_b128 v[0:3], v96
	s_waitcnt lgkmcnt(0)
	v_fma_f64 v[113:114], v[68:69], -0.5, v[0:1]
	v_add_f64 v[68:69], v[82:83], v[90:91]
	v_add_f64 v[0:1], v[0:1], v[80:81]
	v_fma_f64 v[115:116], v[68:69], -0.5, v[2:3]
	v_add_f64 v[68:69], v[76:77], v[84:85]
	v_add_f64 v[2:3], v[2:3], v[82:83]
	;; [unrolled: 1-line block ×3, first 2 shown]
	v_add_f64 v[88:89], v[80:81], -v[88:89]
	v_add_f64 v[72:73], v[68:69], v[92:93]
	v_add_f64 v[68:69], v[78:79], v[86:87]
	;; [unrolled: 1-line block ×3, first 2 shown]
	v_add_f64 v[90:91], v[82:83], -v[90:91]
	v_add_f64 v[74:75], v[68:69], v[94:95]
	v_add_f64 v[68:69], v[0:1], v[72:73]
	v_add_f64 v[72:73], v[0:1], -v[72:73]
	v_add_f64 v[0:1], v[86:87], v[94:95]
	v_add_f64 v[86:87], v[86:87], -v[94:95]
	v_fma_f64 v[94:95], v[88:89], s[28:29], v[115:116]
	v_add_f64 v[70:71], v[2:3], v[74:75]
	v_add_f64 v[74:75], v[2:3], -v[74:75]
	v_add_f64 v[2:3], v[84:85], v[92:93]
	v_fma_f64 v[0:1], v[0:1], -0.5, v[78:79]
	v_add_f64 v[84:85], v[84:85], -v[92:93]
	v_fma_f64 v[2:3], v[2:3], -0.5, v[76:77]
	v_fma_f64 v[76:77], v[84:85], s[28:29], v[0:1]
	v_fma_f64 v[0:1], v[84:85], s[30:31], v[0:1]
	;; [unrolled: 1-line block ×4, first 2 shown]
	v_mul_f64 v[78:79], v[76:77], s[30:31]
	v_mul_f64 v[76:77], v[76:77], 0.5
	v_mul_f64 v[84:85], v[0:1], s[30:31]
	v_mul_f64 v[0:1], v[0:1], -0.5
	v_fma_f64 v[82:83], v[80:81], 0.5, v[78:79]
	v_fma_f64 v[92:93], v[80:81], s[28:29], v[76:77]
	v_fma_f64 v[80:81], v[90:91], s[30:31], v[113:114]
	;; [unrolled: 1-line block ×4, first 2 shown]
	v_add_f64 v[78:79], v[94:95], v[92:93]
	v_add_f64 v[76:77], v[80:81], v[82:83]
	v_add_f64 v[80:81], v[80:81], -v[82:83]
	v_add_f64 v[82:83], v[94:95], -v[92:93]
	v_fma_f64 v[92:93], v[88:89], s[30:31], v[115:116]
	v_fma_f64 v[88:89], v[2:3], -0.5, v[84:85]
	v_add_f64 v[86:87], v[92:93], v[0:1]
	v_add_f64 v[84:85], v[90:91], v[88:89]
	v_add_f64 v[88:89], v[90:91], -v[88:89]
	v_add_f64 v[90:91], v[92:93], -v[0:1]
	ds_read_b128 v[0:3], v96 offset:8192
	ds_read_b128 v[92:95], v96 offset:2048
	;; [unrolled: 1-line block ×4, first 2 shown]
	s_waitcnt lgkmcnt(0)
	s_barrier
	buffer_load_dword v97, off, s[36:39], 0 offset:1120 ; 4-byte Folded Reload
	s_waitcnt vmcnt(0)
	ds_write_b128 v97, v[68:71]
	ds_write_b128 v97, v[76:79] offset:160
	ds_write_b128 v97, v[84:87] offset:320
	;; [unrolled: 1-line block ×5, first 2 shown]
	v_add_f64 v[68:69], v[12:13], v[100:101]
	v_add_f64 v[70:71], v[94:95], v[10:11]
	v_add_f64 v[84:85], v[8:9], -v[4:5]
	v_add_f64 v[88:89], v[102:103], -v[98:99]
	;; [unrolled: 1-line block ×3, first 2 shown]
	v_fma_f64 v[76:77], v[68:69], -0.5, v[92:93]
	v_add_f64 v[68:69], v[10:11], v[6:7]
	v_add_f64 v[74:75], v[70:71], v[6:7]
	v_fma_f64 v[78:79], v[68:69], -0.5, v[94:95]
	v_add_f64 v[68:69], v[92:93], v[12:13]
	v_add_f64 v[12:13], v[12:13], -v[100:101]
	v_add_f64 v[72:73], v[68:69], v[100:101]
	v_add_f64 v[68:69], v[106:107], v[8:9]
	v_fma_f64 v[92:93], v[12:13], s[28:29], v[78:79]
	v_fma_f64 v[12:13], v[12:13], s[30:31], v[78:79]
	v_add_f64 v[80:81], v[68:69], v[4:5]
	v_add_f64 v[68:69], v[104:105], v[102:103]
	;; [unrolled: 1-line block ×4, first 2 shown]
	v_add_f64 v[72:73], v[72:73], -v[80:81]
	v_add_f64 v[80:81], v[102:103], v[98:99]
	v_add_f64 v[70:71], v[74:75], v[82:83]
	v_add_f64 v[74:75], v[74:75], -v[82:83]
	v_add_f64 v[82:83], v[8:9], v[4:5]
	v_fma_f64 v[80:81], v[80:81], -0.5, v[104:105]
	v_fma_f64 v[82:83], v[82:83], -0.5, v[106:107]
	v_fma_f64 v[4:5], v[84:85], s[28:29], v[80:81]
	v_fma_f64 v[80:81], v[84:85], s[30:31], v[80:81]
	;; [unrolled: 1-line block ×4, first 2 shown]
	v_mul_f64 v[6:7], v[4:5], s[30:31]
	v_mul_f64 v[4:5], v[4:5], 0.5
	v_mul_f64 v[78:79], v[80:81], s[30:31]
	v_mul_f64 v[80:81], v[80:81], -0.5
	v_fma_f64 v[10:11], v[8:9], 0.5, v[6:7]
	v_fma_f64 v[90:91], v[8:9], s[28:29], v[4:5]
	v_fma_f64 v[8:9], v[86:87], s[30:31], v[76:77]
	v_fma_f64 v[76:77], v[88:89], s[28:29], v[82:83]
	v_add_f64 v[6:7], v[92:93], v[90:91]
	v_add_f64 v[4:5], v[8:9], v[10:11]
	v_fma_f64 v[82:83], v[76:77], -0.5, v[78:79]
	v_fma_f64 v[86:87], v[76:77], s[28:29], v[80:81]
	v_add_f64 v[8:9], v[8:9], -v[10:11]
	v_add_f64 v[10:11], v[92:93], -v[90:91]
	v_add_f64 v[76:77], v[84:85], v[82:83]
	v_add_f64 v[78:79], v[12:13], v[86:87]
	v_add_f64 v[80:81], v[84:85], -v[82:83]
	v_add_f64 v[82:83], v[12:13], -v[86:87]
	buffer_load_dword v12, off, s[36:39], 0 offset:1068 ; 4-byte Folded Reload
	s_waitcnt vmcnt(0)
	ds_write_b128 v12, v[68:71]
	ds_write_b128 v12, v[4:7] offset:160
	ds_write_b128 v12, v[76:79] offset:320
	;; [unrolled: 1-line block ×5, first 2 shown]
	v_add_f64 v[4:5], v[48:49], v[111:112]
	v_add_f64 v[6:7], v[115:116], v[50:51]
	v_add_f64 v[74:75], v[253:254], -v[108:109]
	v_fma_f64 v[68:69], v[4:5], -0.5, v[113:114]
	v_add_f64 v[4:5], v[50:51], v[16:17]
	v_add_f64 v[10:11], v[6:7], v[16:17]
	v_add_f64 v[50:51], v[50:51], -v[16:17]
	v_fma_f64 v[70:71], v[4:5], -0.5, v[115:116]
	v_add_f64 v[4:5], v[113:114], v[48:49]
	v_add_f64 v[48:49], v[48:49], -v[111:112]
	v_add_f64 v[8:9], v[4:5], v[111:112]
	v_add_f64 v[4:5], v[58:59], v[18:19]
	v_fma_f64 v[78:79], v[48:49], s[28:29], v[70:71]
	v_fma_f64 v[70:71], v[48:49], s[30:31], v[70:71]
	v_add_f64 v[12:13], v[4:5], v[14:15]
	v_add_f64 v[4:5], v[56:57], v[253:254]
	;; [unrolled: 1-line block ×4, first 2 shown]
	v_add_f64 v[8:9], v[8:9], -v[12:13]
	v_add_f64 v[12:13], v[253:254], v[108:109]
	v_add_f64 v[6:7], v[10:11], v[72:73]
	v_add_f64 v[10:11], v[10:11], -v[72:73]
	v_add_f64 v[72:73], v[18:19], -v[14:15]
	v_fma_f64 v[56:57], v[12:13], -0.5, v[56:57]
	v_add_f64 v[12:13], v[18:19], v[14:15]
	v_fma_f64 v[58:59], v[12:13], -0.5, v[58:59]
	v_fma_f64 v[12:13], v[72:73], s[28:29], v[56:57]
	v_fma_f64 v[56:57], v[72:73], s[30:31], v[56:57]
	;; [unrolled: 1-line block ×3, first 2 shown]
	v_mul_f64 v[14:15], v[12:13], s[30:31]
	v_mul_f64 v[12:13], v[12:13], 0.5
	v_fma_f64 v[48:49], v[74:75], s[28:29], v[58:59]
	v_fma_f64 v[18:19], v[16:17], 0.5, v[14:15]
	v_fma_f64 v[76:77], v[16:17], s[28:29], v[12:13]
	v_fma_f64 v[16:17], v[50:51], s[30:31], v[68:69]
	;; [unrolled: 1-line block ×3, first 2 shown]
	v_mul_f64 v[50:51], v[56:57], s[30:31]
	v_mul_f64 v[56:57], v[56:57], -0.5
	v_add_f64 v[14:15], v[78:79], v[76:77]
	v_add_f64 v[12:13], v[16:17], v[18:19]
	v_add_f64 v[16:17], v[16:17], -v[18:19]
	v_fma_f64 v[58:59], v[48:49], -0.5, v[50:51]
	v_fma_f64 v[72:73], v[48:49], s[28:29], v[56:57]
	v_add_f64 v[18:19], v[78:79], -v[76:77]
	v_add_f64 v[48:49], v[68:69], v[58:59]
	v_add_f64 v[56:57], v[68:69], -v[58:59]
	buffer_load_dword v68, off, s[36:39], 0 offset:1032 ; 4-byte Folded Reload
	v_add_f64 v[50:51], v[70:71], v[72:73]
	v_add_f64 v[58:59], v[70:71], -v[72:73]
	s_waitcnt vmcnt(0)
	ds_write_b128 v68, v[4:7]
	ds_write_b128 v68, v[12:15] offset:160
	ds_write_b128 v68, v[48:51] offset:320
	;; [unrolled: 1-line block ×5, first 2 shown]
	v_add_f64 v[4:5], v[26:27], v[36:37]
	v_add_f64 v[6:7], v[119:120], v[30:31]
	v_fma_f64 v[48:49], v[4:5], -0.5, v[117:118]
	v_add_f64 v[4:5], v[30:31], v[38:39]
	v_add_f64 v[10:11], v[6:7], v[38:39]
	v_add_f64 v[30:31], v[30:31], -v[38:39]
	v_fma_f64 v[50:51], v[4:5], -0.5, v[119:120]
	v_add_f64 v[4:5], v[117:118], v[26:27]
	v_add_f64 v[26:27], v[26:27], -v[36:37]
	v_add_f64 v[8:9], v[4:5], v[36:37]
	v_add_f64 v[4:5], v[62:63], v[34:35]
	;; [unrolled: 1-line block ×6, first 2 shown]
	v_add_f64 v[8:9], v[8:9], -v[12:13]
	v_add_f64 v[12:13], v[32:33], v[40:41]
	v_add_f64 v[32:33], v[32:33], -v[40:41]
	v_fma_f64 v[40:41], v[26:27], s[28:29], v[50:51]
	v_fma_f64 v[26:27], v[26:27], s[30:31], v[50:51]
	v_add_f64 v[6:7], v[10:11], v[14:15]
	v_add_f64 v[10:11], v[10:11], -v[14:15]
	v_fma_f64 v[56:57], v[12:13], -0.5, v[60:61]
	v_add_f64 v[12:13], v[34:35], v[42:43]
	v_add_f64 v[34:35], v[34:35], -v[42:43]
	v_fma_f64 v[36:37], v[12:13], -0.5, v[62:63]
	v_fma_f64 v[12:13], v[34:35], s[28:29], v[56:57]
	v_fma_f64 v[34:35], v[34:35], s[30:31], v[56:57]
	;; [unrolled: 1-line block ×3, first 2 shown]
	v_mul_f64 v[14:15], v[12:13], s[30:31]
	v_mul_f64 v[12:13], v[12:13], 0.5
	v_fma_f64 v[18:19], v[16:17], 0.5, v[14:15]
	v_fma_f64 v[38:39], v[16:17], s[28:29], v[12:13]
	v_fma_f64 v[16:17], v[30:31], s[30:31], v[48:49]
	v_add_f64 v[14:15], v[40:41], v[38:39]
	v_add_f64 v[12:13], v[16:17], v[18:19]
	v_add_f64 v[16:17], v[16:17], -v[18:19]
	v_add_f64 v[18:19], v[40:41], -v[38:39]
	v_fma_f64 v[38:39], v[30:31], s[28:29], v[48:49]
	v_fma_f64 v[30:31], v[32:33], s[28:29], v[36:37]
	v_mul_f64 v[32:33], v[34:35], s[30:31]
	v_mul_f64 v[34:35], v[34:35], -0.5
	v_fma_f64 v[36:37], v[30:31], -0.5, v[32:33]
	v_fma_f64 v[40:41], v[30:31], s[28:29], v[34:35]
	v_add_f64 v[30:31], v[38:39], v[36:37]
	v_add_f64 v[32:33], v[26:27], v[40:41]
	v_add_f64 v[34:35], v[38:39], -v[36:37]
	v_add_f64 v[36:37], v[26:27], -v[40:41]
	buffer_load_dword v26, off, s[36:39], 0 offset:980 ; 4-byte Folded Reload
	s_waitcnt vmcnt(0)
	ds_write_b128 v26, v[4:7]
	ds_write_b128 v26, v[12:15] offset:160
	ds_write_b128 v26, v[30:33] offset:320
	;; [unrolled: 1-line block ×5, first 2 shown]
	v_add_f64 v[4:5], v[54:55], v[28:29]
	v_fma_f64 v[16:17], v[4:5], -0.5, v[0:1]
	v_add_f64 v[4:5], v[52:53], v[24:25]
	v_add_f64 v[0:1], v[0:1], v[54:55]
	v_fma_f64 v[18:19], v[4:5], -0.5, v[2:3]
	v_add_f64 v[4:5], v[0:1], v[28:29]
	v_add_f64 v[0:1], v[66:67], v[44:45]
	;; [unrolled: 1-line block ×3, first 2 shown]
	v_add_f64 v[28:29], v[54:55], -v[28:29]
	v_add_f64 v[8:9], v[0:1], v[22:23]
	v_add_f64 v[0:1], v[64:65], v[46:47]
	;; [unrolled: 1-line block ×3, first 2 shown]
	v_add_f64 v[24:25], v[52:53], -v[24:25]
	v_fma_f64 v[34:35], v[28:29], s[28:29], v[18:19]
	v_add_f64 v[10:11], v[0:1], v[20:21]
	v_add_f64 v[0:1], v[4:5], v[8:9]
	v_add_f64 v[4:5], v[4:5], -v[8:9]
	v_add_f64 v[8:9], v[46:47], v[20:21]
	v_add_f64 v[20:21], v[46:47], -v[20:21]
	;; [unrolled: 2-line block ×3, first 2 shown]
	v_fma_f64 v[26:27], v[8:9], -0.5, v[64:65]
	v_add_f64 v[8:9], v[44:45], v[22:23]
	v_add_f64 v[22:23], v[44:45], -v[22:23]
	v_fma_f64 v[30:31], v[8:9], -0.5, v[66:67]
	v_fma_f64 v[8:9], v[22:23], s[28:29], v[26:27]
	v_fma_f64 v[22:23], v[22:23], s[30:31], v[26:27]
	;; [unrolled: 1-line block ×4, first 2 shown]
	v_mul_f64 v[10:11], v[8:9], s[30:31]
	v_mul_f64 v[8:9], v[8:9], 0.5
	v_mul_f64 v[18:19], v[22:23], s[30:31]
	v_fma_f64 v[14:15], v[12:13], 0.5, v[10:11]
	v_fma_f64 v[32:33], v[12:13], s[28:29], v[8:9]
	v_fma_f64 v[12:13], v[24:25], s[30:31], v[16:17]
	;; [unrolled: 1-line block ×4, first 2 shown]
	v_mul_f64 v[20:21], v[22:23], -0.5
	v_add_f64 v[10:11], v[34:35], v[32:33]
	v_add_f64 v[8:9], v[12:13], v[14:15]
	v_add_f64 v[12:13], v[12:13], -v[14:15]
	v_fma_f64 v[22:23], v[16:17], -0.5, v[18:19]
	v_fma_f64 v[28:29], v[16:17], s[28:29], v[20:21]
	v_add_f64 v[14:15], v[34:35], -v[32:33]
	v_add_f64 v[16:17], v[24:25], v[22:23]
	v_add_f64 v[20:21], v[24:25], -v[22:23]
	buffer_load_dword v24, off, s[36:39], 0 offset:912 ; 4-byte Folded Reload
	v_add_f64 v[18:19], v[26:27], v[28:29]
	v_add_f64 v[22:23], v[26:27], -v[28:29]
	s_waitcnt vmcnt(0)
	ds_write_b128 v24, v[0:3]
	ds_write_b128 v24, v[8:11] offset:160
	ds_write_b128 v24, v[16:19] offset:320
	;; [unrolled: 1-line block ×5, first 2 shown]
	s_waitcnt lgkmcnt(0)
	s_barrier
	ds_read_b128 v[0:3], v96 offset:30720
	buffer_load_dword v6, off, s[36:39], 0 offset:932 ; 4-byte Folded Reload
	buffer_load_dword v7, off, s[36:39], 0 offset:936 ; 4-byte Folded Reload
	buffer_load_dword v8, off, s[36:39], 0 offset:940 ; 4-byte Folded Reload
	buffer_load_dword v9, off, s[36:39], 0 offset:944 ; 4-byte Folded Reload
	s_waitcnt vmcnt(0) lgkmcnt(0)
	v_mul_f64 v[4:5], v[8:9], v[2:3]
	v_fma_f64 v[4:5], v[6:7], v[0:1], v[4:5]
	v_mul_f64 v[0:1], v[8:9], v[0:1]
	v_fma_f64 v[6:7], v[6:7], v[2:3], -v[0:1]
	ds_read_b128 v[0:3], v96 offset:32768
	buffer_load_dword v10, off, s[36:39], 0 offset:964 ; 4-byte Folded Reload
	buffer_load_dword v11, off, s[36:39], 0 offset:968 ; 4-byte Folded Reload
	buffer_load_dword v12, off, s[36:39], 0 offset:972 ; 4-byte Folded Reload
	buffer_load_dword v13, off, s[36:39], 0 offset:976 ; 4-byte Folded Reload
	s_waitcnt vmcnt(0) lgkmcnt(0)
	v_mul_f64 v[8:9], v[12:13], v[2:3]
	v_fma_f64 v[64:65], v[10:11], v[0:1], v[8:9]
	v_mul_f64 v[0:1], v[12:13], v[0:1]
	v_fma_f64 v[66:67], v[10:11], v[2:3], -v[0:1]
	;; [unrolled: 10-line block ×15, first 2 shown]
	ds_read_b128 v[0:3], v96
	ds_read_b128 v[8:11], v96 offset:28672
	ds_read_b128 v[12:15], v96 offset:2048
	;; [unrolled: 1-line block ×14, first 2 shown]
	s_waitcnt lgkmcnt(0)
	s_barrier
	buffer_load_dword v121, off, s[36:39], 0 offset:1260 ; 4-byte Folded Reload
	v_add_f64 v[4:5], v[0:1], -v[4:5]
	v_add_f64 v[6:7], v[2:3], -v[6:7]
	v_fma_f64 v[0:1], v[0:1], 2.0, -v[4:5]
	v_fma_f64 v[2:3], v[2:3], 2.0, -v[6:7]
	s_waitcnt vmcnt(0)
	ds_write_b128 v121, v[0:3]
	ds_write_b128 v121, v[4:7] offset:960
	v_add_f64 v[0:1], v[12:13], -v[64:65]
	v_add_f64 v[2:3], v[14:15], -v[66:67]
	v_fma_f64 v[4:5], v[12:13], 2.0, -v[0:1]
	buffer_load_dword v12, off, s[36:39], 0 offset:1256 ; 4-byte Folded Reload
	v_fma_f64 v[6:7], v[14:15], 2.0, -v[2:3]
	s_waitcnt vmcnt(0)
	ds_write_b128 v12, v[4:7]
	ds_write_b128 v12, v[0:3] offset:960
	buffer_load_dword v12, off, s[36:39], 0 offset:1252 ; 4-byte Folded Reload
	v_add_f64 v[0:1], v[16:17], -v[68:69]
	v_add_f64 v[2:3], v[18:19], -v[70:71]
	v_fma_f64 v[4:5], v[16:17], 2.0, -v[0:1]
	v_fma_f64 v[6:7], v[18:19], 2.0, -v[2:3]
	s_waitcnt vmcnt(0)
	ds_write_b128 v12, v[4:7]
	ds_write_b128 v12, v[0:3] offset:960
	buffer_load_dword v12, off, s[36:39], 0 offset:1248 ; 4-byte Folded Reload
	v_add_f64 v[0:1], v[20:21], -v[72:73]
	v_add_f64 v[2:3], v[22:23], -v[74:75]
	v_fma_f64 v[4:5], v[20:21], 2.0, -v[0:1]
	;; [unrolled: 8-line block ×12, first 2 shown]
	v_fma_f64 v[6:7], v[62:63], 2.0, -v[2:3]
	s_waitcnt vmcnt(0)
	ds_write_b128 v12, v[4:7]
	ds_write_b128 v12, v[0:3] offset:960
	v_add_f64 v[0:1], v[8:9], -v[117:118]
	v_add_f64 v[2:3], v[10:11], -v[119:120]
	v_fma_f64 v[4:5], v[8:9], 2.0, -v[0:1]
	buffer_load_dword v8, off, s[36:39], 0 offset:1188 ; 4-byte Folded Reload
	v_fma_f64 v[6:7], v[10:11], 2.0, -v[2:3]
	s_waitcnt vmcnt(0)
	ds_write_b128 v8, v[4:7]
	ds_write_b128 v8, v[0:3] offset:960
	s_waitcnt lgkmcnt(0)
	s_barrier
	ds_read_b128 v[0:3], v96 offset:30720
	buffer_load_dword v6, off, s[36:39], 0 offset:1264 ; 4-byte Folded Reload
	buffer_load_dword v7, off, s[36:39], 0 offset:1268 ; 4-byte Folded Reload
	buffer_load_dword v8, off, s[36:39], 0 offset:1272 ; 4-byte Folded Reload
	buffer_load_dword v9, off, s[36:39], 0 offset:1276 ; 4-byte Folded Reload
	s_waitcnt vmcnt(0) lgkmcnt(0)
	v_mul_f64 v[4:5], v[8:9], v[2:3]
	v_fma_f64 v[4:5], v[6:7], v[0:1], v[4:5]
	v_mul_f64 v[0:1], v[8:9], v[0:1]
	v_fma_f64 v[6:7], v[6:7], v[2:3], -v[0:1]
	ds_read_b128 v[0:3], v96 offset:32768
	buffer_load_dword v10, off, s[36:39], 0 offset:1280 ; 4-byte Folded Reload
	buffer_load_dword v11, off, s[36:39], 0 offset:1284 ; 4-byte Folded Reload
	buffer_load_dword v12, off, s[36:39], 0 offset:1288 ; 4-byte Folded Reload
	buffer_load_dword v13, off, s[36:39], 0 offset:1292 ; 4-byte Folded Reload
	s_waitcnt vmcnt(0) lgkmcnt(0)
	v_mul_f64 v[8:9], v[12:13], v[2:3]
	v_fma_f64 v[64:65], v[10:11], v[0:1], v[8:9]
	v_mul_f64 v[0:1], v[12:13], v[0:1]
	v_fma_f64 v[66:67], v[10:11], v[2:3], -v[0:1]
	;; [unrolled: 10-line block ×15, first 2 shown]
	ds_read_b128 v[0:3], v96
	ds_read_b128 v[8:11], v96 offset:28672
	ds_read_b128 v[12:15], v96 offset:2048
	;; [unrolled: 1-line block ×14, first 2 shown]
	s_waitcnt lgkmcnt(0)
	s_barrier
	buffer_load_dword v121, off, s[36:39], 0 offset:1560 ; 4-byte Folded Reload
	v_add_f64 v[4:5], v[0:1], -v[4:5]
	v_add_f64 v[6:7], v[2:3], -v[6:7]
	v_fma_f64 v[0:1], v[0:1], 2.0, -v[4:5]
	v_fma_f64 v[2:3], v[2:3], 2.0, -v[6:7]
	s_waitcnt vmcnt(0)
	ds_write_b128 v121, v[0:3]
	ds_write_b128 v121, v[4:7] offset:1920
	v_add_f64 v[0:1], v[12:13], -v[64:65]
	v_add_f64 v[2:3], v[14:15], -v[66:67]
	v_fma_f64 v[4:5], v[12:13], 2.0, -v[0:1]
	buffer_load_dword v12, off, s[36:39], 0 offset:1556 ; 4-byte Folded Reload
	v_fma_f64 v[6:7], v[14:15], 2.0, -v[2:3]
	s_waitcnt vmcnt(0)
	ds_write_b128 v12, v[4:7]
	ds_write_b128 v12, v[0:3] offset:1920
	buffer_load_dword v12, off, s[36:39], 0 offset:1552 ; 4-byte Folded Reload
	v_add_f64 v[0:1], v[16:17], -v[68:69]
	v_add_f64 v[2:3], v[18:19], -v[70:71]
	v_fma_f64 v[4:5], v[16:17], 2.0, -v[0:1]
	v_fma_f64 v[6:7], v[18:19], 2.0, -v[2:3]
	s_waitcnt vmcnt(0)
	ds_write_b128 v12, v[4:7]
	ds_write_b128 v12, v[0:3] offset:1920
	buffer_load_dword v12, off, s[36:39], 0 offset:1548 ; 4-byte Folded Reload
	v_add_f64 v[0:1], v[20:21], -v[72:73]
	v_add_f64 v[2:3], v[22:23], -v[74:75]
	v_fma_f64 v[4:5], v[20:21], 2.0, -v[0:1]
	;; [unrolled: 8-line block ×12, first 2 shown]
	v_fma_f64 v[6:7], v[62:63], 2.0, -v[2:3]
	s_waitcnt vmcnt(0)
	ds_write_b128 v12, v[4:7]
	ds_write_b128 v12, v[0:3] offset:1920
	v_add_f64 v[0:1], v[8:9], -v[117:118]
	v_add_f64 v[2:3], v[10:11], -v[119:120]
	v_fma_f64 v[4:5], v[8:9], 2.0, -v[0:1]
	buffer_load_dword v8, off, s[36:39], 0 offset:1488 ; 4-byte Folded Reload
	v_fma_f64 v[6:7], v[10:11], 2.0, -v[2:3]
	s_waitcnt vmcnt(0)
	ds_write_b128 v8, v[4:7]
	ds_write_b128 v8, v[0:3] offset:1920
	s_waitcnt lgkmcnt(0)
	s_barrier
	ds_read_b128 v[0:3], v96 offset:30720
	buffer_load_dword v6, off, s[36:39], 0 offset:1564 ; 4-byte Folded Reload
	buffer_load_dword v7, off, s[36:39], 0 offset:1568 ; 4-byte Folded Reload
	buffer_load_dword v8, off, s[36:39], 0 offset:1572 ; 4-byte Folded Reload
	buffer_load_dword v9, off, s[36:39], 0 offset:1576 ; 4-byte Folded Reload
	s_waitcnt vmcnt(0) lgkmcnt(0)
	v_mul_f64 v[4:5], v[8:9], v[2:3]
	v_fma_f64 v[4:5], v[6:7], v[0:1], v[4:5]
	v_mul_f64 v[0:1], v[8:9], v[0:1]
	v_fma_f64 v[6:7], v[6:7], v[2:3], -v[0:1]
	ds_read_b128 v[0:3], v96 offset:32768
	buffer_load_dword v14, off, s[36:39], 0 offset:1580 ; 4-byte Folded Reload
	buffer_load_dword v15, off, s[36:39], 0 offset:1584 ; 4-byte Folded Reload
	buffer_load_dword v16, off, s[36:39], 0 offset:1588 ; 4-byte Folded Reload
	buffer_load_dword v17, off, s[36:39], 0 offset:1592 ; 4-byte Folded Reload
	s_waitcnt vmcnt(0) lgkmcnt(0)
	v_mul_f64 v[8:9], v[16:17], v[2:3]
	v_fma_f64 v[12:13], v[14:15], v[0:1], v[8:9]
	v_mul_f64 v[0:1], v[16:17], v[0:1]
	v_fma_f64 v[14:15], v[14:15], v[2:3], -v[0:1]
	ds_read_b128 v[0:3], v96 offset:34816
	buffer_load_dword v16, off, s[36:39], 0 offset:1596 ; 4-byte Folded Reload
	buffer_load_dword v17, off, s[36:39], 0 offset:1600 ; 4-byte Folded Reload
	buffer_load_dword v18, off, s[36:39], 0 offset:1604 ; 4-byte Folded Reload
	buffer_load_dword v19, off, s[36:39], 0 offset:1608 ; 4-byte Folded Reload
	s_waitcnt vmcnt(0) lgkmcnt(0)
	v_mul_f64 v[8:9], v[18:19], v[2:3]
	v_fma_f64 v[68:69], v[16:17], v[0:1], v[8:9]
	v_mul_f64 v[0:1], v[18:19], v[0:1]
	v_fma_f64 v[70:71], v[16:17], v[2:3], -v[0:1]
	ds_read_b128 v[0:3], v96 offset:36864
	buffer_load_dword v16, off, s[36:39], 0 offset:1612 ; 4-byte Folded Reload
	buffer_load_dword v17, off, s[36:39], 0 offset:1616 ; 4-byte Folded Reload
	buffer_load_dword v18, off, s[36:39], 0 offset:1620 ; 4-byte Folded Reload
	buffer_load_dword v19, off, s[36:39], 0 offset:1624 ; 4-byte Folded Reload
	s_waitcnt vmcnt(0) lgkmcnt(0)
	v_mul_f64 v[8:9], v[18:19], v[2:3]
	v_fma_f64 v[72:73], v[16:17], v[0:1], v[8:9]
	v_mul_f64 v[0:1], v[18:19], v[0:1]
	v_fma_f64 v[74:75], v[16:17], v[2:3], -v[0:1]
	ds_read_b128 v[0:3], v96 offset:38912
	buffer_load_dword v16, off, s[36:39], 0 offset:1628 ; 4-byte Folded Reload
	buffer_load_dword v17, off, s[36:39], 0 offset:1632 ; 4-byte Folded Reload
	buffer_load_dword v18, off, s[36:39], 0 offset:1636 ; 4-byte Folded Reload
	buffer_load_dword v19, off, s[36:39], 0 offset:1640 ; 4-byte Folded Reload
	s_waitcnt vmcnt(0) lgkmcnt(0)
	v_mul_f64 v[8:9], v[18:19], v[2:3]
	v_fma_f64 v[76:77], v[16:17], v[0:1], v[8:9]
	v_mul_f64 v[0:1], v[18:19], v[0:1]
	v_fma_f64 v[78:79], v[16:17], v[2:3], -v[0:1]
	ds_read_b128 v[0:3], v96 offset:40960
	buffer_load_dword v16, off, s[36:39], 0 offset:1644 ; 4-byte Folded Reload
	buffer_load_dword v17, off, s[36:39], 0 offset:1648 ; 4-byte Folded Reload
	buffer_load_dword v18, off, s[36:39], 0 offset:1652 ; 4-byte Folded Reload
	buffer_load_dword v19, off, s[36:39], 0 offset:1656 ; 4-byte Folded Reload
	s_waitcnt vmcnt(0) lgkmcnt(0)
	v_mul_f64 v[8:9], v[18:19], v[2:3]
	v_fma_f64 v[80:81], v[16:17], v[0:1], v[8:9]
	v_mul_f64 v[0:1], v[18:19], v[0:1]
	v_fma_f64 v[82:83], v[16:17], v[2:3], -v[0:1]
	ds_read_b128 v[0:3], v96 offset:43008
	buffer_load_dword v16, off, s[36:39], 0 offset:1660 ; 4-byte Folded Reload
	buffer_load_dword v17, off, s[36:39], 0 offset:1664 ; 4-byte Folded Reload
	buffer_load_dword v18, off, s[36:39], 0 offset:1668 ; 4-byte Folded Reload
	buffer_load_dword v19, off, s[36:39], 0 offset:1672 ; 4-byte Folded Reload
	s_waitcnt vmcnt(0) lgkmcnt(0)
	v_mul_f64 v[8:9], v[18:19], v[2:3]
	v_fma_f64 v[84:85], v[16:17], v[0:1], v[8:9]
	v_mul_f64 v[0:1], v[18:19], v[0:1]
	v_fma_f64 v[86:87], v[16:17], v[2:3], -v[0:1]
	ds_read_b128 v[0:3], v96 offset:45056
	buffer_load_dword v16, off, s[36:39], 0 offset:1676 ; 4-byte Folded Reload
	buffer_load_dword v17, off, s[36:39], 0 offset:1680 ; 4-byte Folded Reload
	buffer_load_dword v18, off, s[36:39], 0 offset:1684 ; 4-byte Folded Reload
	buffer_load_dword v19, off, s[36:39], 0 offset:1688 ; 4-byte Folded Reload
	s_waitcnt vmcnt(0) lgkmcnt(0)
	v_mul_f64 v[8:9], v[18:19], v[2:3]
	v_fma_f64 v[88:89], v[16:17], v[0:1], v[8:9]
	v_mul_f64 v[0:1], v[18:19], v[0:1]
	v_fma_f64 v[90:91], v[16:17], v[2:3], -v[0:1]
	ds_read_b128 v[0:3], v96 offset:47104
	buffer_load_dword v16, off, s[36:39], 0 offset:1692 ; 4-byte Folded Reload
	buffer_load_dword v17, off, s[36:39], 0 offset:1696 ; 4-byte Folded Reload
	buffer_load_dword v18, off, s[36:39], 0 offset:1700 ; 4-byte Folded Reload
	buffer_load_dword v19, off, s[36:39], 0 offset:1704 ; 4-byte Folded Reload
	s_waitcnt vmcnt(0) lgkmcnt(0)
	v_mul_f64 v[8:9], v[18:19], v[2:3]
	v_fma_f64 v[92:93], v[16:17], v[0:1], v[8:9]
	v_mul_f64 v[0:1], v[18:19], v[0:1]
	v_fma_f64 v[94:95], v[16:17], v[2:3], -v[0:1]
	ds_read_b128 v[0:3], v96 offset:49152
	buffer_load_dword v16, off, s[36:39], 0 offset:1708 ; 4-byte Folded Reload
	buffer_load_dword v17, off, s[36:39], 0 offset:1712 ; 4-byte Folded Reload
	buffer_load_dword v18, off, s[36:39], 0 offset:1716 ; 4-byte Folded Reload
	buffer_load_dword v19, off, s[36:39], 0 offset:1720 ; 4-byte Folded Reload
	s_waitcnt vmcnt(0) lgkmcnt(0)
	v_mul_f64 v[8:9], v[18:19], v[2:3]
	v_fma_f64 v[97:98], v[16:17], v[0:1], v[8:9]
	v_mul_f64 v[0:1], v[18:19], v[0:1]
	v_fma_f64 v[99:100], v[16:17], v[2:3], -v[0:1]
	ds_read_b128 v[0:3], v96 offset:51200
	buffer_load_dword v16, off, s[36:39], 0 offset:1724 ; 4-byte Folded Reload
	buffer_load_dword v17, off, s[36:39], 0 offset:1728 ; 4-byte Folded Reload
	buffer_load_dword v18, off, s[36:39], 0 offset:1732 ; 4-byte Folded Reload
	buffer_load_dword v19, off, s[36:39], 0 offset:1736 ; 4-byte Folded Reload
	s_waitcnt vmcnt(0) lgkmcnt(0)
	v_mul_f64 v[8:9], v[18:19], v[2:3]
	v_fma_f64 v[101:102], v[16:17], v[0:1], v[8:9]
	v_mul_f64 v[0:1], v[18:19], v[0:1]
	v_fma_f64 v[103:104], v[16:17], v[2:3], -v[0:1]
	ds_read_b128 v[0:3], v96 offset:53248
	buffer_load_dword v16, off, s[36:39], 0 offset:1740 ; 4-byte Folded Reload
	buffer_load_dword v17, off, s[36:39], 0 offset:1744 ; 4-byte Folded Reload
	buffer_load_dword v18, off, s[36:39], 0 offset:1748 ; 4-byte Folded Reload
	buffer_load_dword v19, off, s[36:39], 0 offset:1752 ; 4-byte Folded Reload
	s_waitcnt vmcnt(0) lgkmcnt(0)
	v_mul_f64 v[8:9], v[18:19], v[2:3]
	v_fma_f64 v[105:106], v[16:17], v[0:1], v[8:9]
	v_mul_f64 v[0:1], v[18:19], v[0:1]
	v_fma_f64 v[107:108], v[16:17], v[2:3], -v[0:1]
	ds_read_b128 v[0:3], v96 offset:55296
	buffer_load_dword v16, off, s[36:39], 0 offset:1756 ; 4-byte Folded Reload
	buffer_load_dword v17, off, s[36:39], 0 offset:1760 ; 4-byte Folded Reload
	buffer_load_dword v18, off, s[36:39], 0 offset:1764 ; 4-byte Folded Reload
	buffer_load_dword v19, off, s[36:39], 0 offset:1768 ; 4-byte Folded Reload
	s_waitcnt vmcnt(0) lgkmcnt(0)
	v_mul_f64 v[8:9], v[18:19], v[2:3]
	v_fma_f64 v[109:110], v[16:17], v[0:1], v[8:9]
	v_mul_f64 v[0:1], v[18:19], v[0:1]
	v_fma_f64 v[111:112], v[16:17], v[2:3], -v[0:1]
	ds_read_b128 v[0:3], v96 offset:57344
	buffer_load_dword v16, off, s[36:39], 0 offset:1784 ; 4-byte Folded Reload
	buffer_load_dword v17, off, s[36:39], 0 offset:1788 ; 4-byte Folded Reload
	buffer_load_dword v18, off, s[36:39], 0 offset:1792 ; 4-byte Folded Reload
	buffer_load_dword v19, off, s[36:39], 0 offset:1796 ; 4-byte Folded Reload
	s_waitcnt vmcnt(0) lgkmcnt(0)
	v_mul_f64 v[8:9], v[18:19], v[2:3]
	v_fma_f64 v[113:114], v[16:17], v[0:1], v[8:9]
	v_mul_f64 v[0:1], v[18:19], v[0:1]
	v_fma_f64 v[115:116], v[16:17], v[2:3], -v[0:1]
	ds_read_b128 v[0:3], v96 offset:59392
	buffer_load_dword v16, off, s[36:39], 0 offset:1820 ; 4-byte Folded Reload
	buffer_load_dword v17, off, s[36:39], 0 offset:1824 ; 4-byte Folded Reload
	;; [unrolled: 1-line block ×4, first 2 shown]
	s_waitcnt vmcnt(0) lgkmcnt(0)
	v_mul_f64 v[8:9], v[18:19], v[2:3]
	v_fma_f64 v[117:118], v[16:17], v[0:1], v[8:9]
	v_mul_f64 v[0:1], v[18:19], v[0:1]
	ds_read_b128 v[8:11], v96 offset:2048
	s_waitcnt lgkmcnt(0)
	v_add_f64 v[12:13], v[8:9], -v[12:13]
	v_add_f64 v[14:15], v[10:11], -v[14:15]
	v_fma_f64 v[119:120], v[16:17], v[2:3], -v[0:1]
	ds_read_b128 v[0:3], v96
	ds_read_b128 v[16:19], v96 offset:28672
	ds_read_b128 v[20:23], v96 offset:4096
	;; [unrolled: 1-line block ×13, first 2 shown]
	s_waitcnt lgkmcnt(0)
	s_barrier
	v_add_f64 v[4:5], v[0:1], -v[4:5]
	v_add_f64 v[6:7], v[2:3], -v[6:7]
	v_fma_f64 v[8:9], v[8:9], 2.0, -v[12:13]
	v_fma_f64 v[10:11], v[10:11], 2.0, -v[14:15]
	;; [unrolled: 1-line block ×4, first 2 shown]
	ds_write_b128 v96, v[0:3]
	ds_write_b128 v96, v[4:7] offset:3840
	buffer_load_dword v0, off, s[36:39], 0 offset:1852 ; 4-byte Folded Reload
	s_waitcnt vmcnt(0)
	ds_write_b128 v0, v[8:11]
	ds_write_b128 v0, v[12:15] offset:3840
	v_add_f64 v[0:1], v[20:21], -v[68:69]
	v_add_f64 v[2:3], v[22:23], -v[70:71]
	;; [unrolled: 1-line block ×4, first 2 shown]
	v_fma_f64 v[4:5], v[20:21], 2.0, -v[0:1]
	v_fma_f64 v[6:7], v[22:23], 2.0, -v[2:3]
	ds_write_b128 v96, v[4:7] offset:7936
	ds_write_b128 v96, v[0:3] offset:11776
	buffer_load_dword v0, off, s[36:39], 0 offset:1848 ; 4-byte Folded Reload
	v_fma_f64 v[12:13], v[24:25], 2.0, -v[8:9]
	v_fma_f64 v[14:15], v[26:27], 2.0, -v[10:11]
	s_waitcnt vmcnt(0)
	ds_write_b128 v0, v[12:15]
	ds_write_b128 v0, v[8:11] offset:3840
	buffer_load_dword v8, off, s[36:39], 0 offset:1844 ; 4-byte Folded Reload
	v_add_f64 v[0:1], v[28:29], -v[76:77]
	v_add_f64 v[2:3], v[30:31], -v[78:79]
	v_fma_f64 v[4:5], v[28:29], 2.0, -v[0:1]
	v_fma_f64 v[6:7], v[30:31], 2.0, -v[2:3]
	s_waitcnt vmcnt(0)
	ds_write_b128 v8, v[4:7] offset:15360
	ds_write_b128 v8, v[0:3] offset:19200
	buffer_load_dword v8, off, s[36:39], 0 offset:1840 ; 4-byte Folded Reload
	v_add_f64 v[0:1], v[32:33], -v[80:81]
	v_add_f64 v[2:3], v[34:35], -v[82:83]
	v_fma_f64 v[4:5], v[32:33], 2.0, -v[0:1]
	v_fma_f64 v[6:7], v[34:35], 2.0, -v[2:3]
	s_waitcnt vmcnt(0)
	ds_write_b128 v8, v[4:7]
	ds_write_b128 v8, v[0:3] offset:3840
	buffer_load_dword v8, off, s[36:39], 0 offset:1836 ; 4-byte Folded Reload
	v_add_f64 v[0:1], v[36:37], -v[84:85]
	v_add_f64 v[2:3], v[38:39], -v[86:87]
	v_fma_f64 v[4:5], v[36:37], 2.0, -v[0:1]
	v_fma_f64 v[6:7], v[38:39], 2.0, -v[2:3]
	s_waitcnt vmcnt(0)
	ds_write_b128 v8, v[4:7] offset:23040
	ds_write_b128 v8, v[0:3] offset:26880
	buffer_load_dword v8, off, s[36:39], 0 offset:1816 ; 4-byte Folded Reload
	v_add_f64 v[0:1], v[40:41], -v[88:89]
	v_add_f64 v[2:3], v[42:43], -v[90:91]
	;; [unrolled: 16-line block ×5, first 2 shown]
	v_fma_f64 v[4:5], v[64:65], 2.0, -v[0:1]
	v_fma_f64 v[6:7], v[66:67], 2.0, -v[2:3]
	s_waitcnt vmcnt(0)
	ds_write_b128 v8, v[4:7]
	ds_write_b128 v8, v[0:3] offset:3840
	buffer_load_dword v8, off, s[36:39], 0 offset:1772 ; 4-byte Folded Reload
	v_add_f64 v[0:1], v[16:17], -v[117:118]
	v_add_f64 v[2:3], v[18:19], -v[119:120]
	v_fma_f64 v[4:5], v[16:17], 2.0, -v[0:1]
	v_fma_f64 v[6:7], v[18:19], 2.0, -v[2:3]
	s_waitcnt vmcnt(0)
	ds_write_b128 v8, v[4:7] offset:53760
	ds_write_b128 v8, v[0:3] offset:57600
	s_waitcnt lgkmcnt(0)
	s_barrier
	ds_read_b128 v[0:3], v96 offset:30720
	buffer_load_dword v6, off, s[36:39], 0 offset:1856 ; 4-byte Folded Reload
	buffer_load_dword v7, off, s[36:39], 0 offset:1860 ; 4-byte Folded Reload
	buffer_load_dword v8, off, s[36:39], 0 offset:1864 ; 4-byte Folded Reload
	buffer_load_dword v9, off, s[36:39], 0 offset:1868 ; 4-byte Folded Reload
	s_waitcnt vmcnt(0) lgkmcnt(0)
	v_mul_f64 v[4:5], v[8:9], v[2:3]
	v_fma_f64 v[4:5], v[6:7], v[0:1], v[4:5]
	v_mul_f64 v[0:1], v[8:9], v[0:1]
	v_fma_f64 v[6:7], v[6:7], v[2:3], -v[0:1]
	ds_read_b128 v[0:3], v96 offset:32768
	buffer_load_dword v14, off, s[36:39], 0 offset:1872 ; 4-byte Folded Reload
	buffer_load_dword v15, off, s[36:39], 0 offset:1876 ; 4-byte Folded Reload
	buffer_load_dword v16, off, s[36:39], 0 offset:1880 ; 4-byte Folded Reload
	buffer_load_dword v17, off, s[36:39], 0 offset:1884 ; 4-byte Folded Reload
	s_waitcnt vmcnt(0) lgkmcnt(0)
	v_mul_f64 v[8:9], v[16:17], v[2:3]
	v_fma_f64 v[12:13], v[14:15], v[0:1], v[8:9]
	v_mul_f64 v[0:1], v[16:17], v[0:1]
	v_fma_f64 v[14:15], v[14:15], v[2:3], -v[0:1]
	;; [unrolled: 10-line block ×14, first 2 shown]
	ds_read_b128 v[0:3], v96 offset:59392
	buffer_load_dword v16, off, s[36:39], 0 offset:2108 ; 4-byte Folded Reload
	buffer_load_dword v17, off, s[36:39], 0 offset:2112 ; 4-byte Folded Reload
	;; [unrolled: 1-line block ×4, first 2 shown]
	ds_read_b128 v[24:27], v96 offset:6144
	s_waitcnt lgkmcnt(0)
	v_add_f64 v[28:29], v[24:25], -v[28:29]
	v_add_f64 v[30:31], v[26:27], -v[30:31]
	v_fma_f64 v[24:25], v[24:25], 2.0, -v[28:29]
	v_fma_f64 v[26:27], v[26:27], 2.0, -v[30:31]
	s_waitcnt vmcnt(0)
	v_mul_f64 v[8:9], v[18:19], v[2:3]
	v_fma_f64 v[117:118], v[16:17], v[0:1], v[8:9]
	v_mul_f64 v[0:1], v[18:19], v[0:1]
	ds_read_b128 v[8:11], v96 offset:2048
	s_waitcnt lgkmcnt(0)
	v_add_f64 v[12:13], v[8:9], -v[12:13]
	v_add_f64 v[14:15], v[10:11], -v[14:15]
	v_fma_f64 v[119:120], v[16:17], v[2:3], -v[0:1]
	ds_read_b128 v[0:3], v96
	ds_read_b128 v[16:19], v96 offset:4096
	ds_read_b128 v[32:35], v96 offset:28672
	ds_read_b128 v[36:39], v96 offset:8192
	ds_read_b128 v[40:43], v96 offset:10240
	ds_read_b128 v[44:47], v96 offset:12288
	ds_read_b128 v[48:51], v96 offset:14336
	ds_read_b128 v[52:55], v96 offset:16384
	ds_read_b128 v[56:59], v96 offset:18432
	ds_read_b128 v[60:63], v96 offset:20480
	ds_read_b128 v[64:67], v96 offset:22528
	ds_read_b128 v[68:71], v96 offset:24576
	ds_read_b128 v[72:75], v96 offset:26624
	s_waitcnt lgkmcnt(0)
	s_barrier
	v_add_f64 v[4:5], v[0:1], -v[4:5]
	v_add_f64 v[6:7], v[2:3], -v[6:7]
	v_add_f64 v[20:21], v[16:17], -v[20:21]
	v_add_f64 v[22:23], v[18:19], -v[22:23]
	v_fma_f64 v[8:9], v[8:9], 2.0, -v[12:13]
	v_fma_f64 v[10:11], v[10:11], 2.0, -v[14:15]
	;; [unrolled: 1-line block ×6, first 2 shown]
	ds_write_b128 v96, v[0:3]
	ds_write_b128 v96, v[4:7] offset:7680
	ds_write_b128 v96, v[8:11] offset:2048
	;; [unrolled: 1-line block ×5, first 2 shown]
	buffer_load_dword v0, off, s[36:39], 0 offset:2128 ; 4-byte Folded Reload
	s_waitcnt vmcnt(0)
	ds_write_b128 v0, v[24:27]
	ds_write_b128 v0, v[28:31] offset:7680
	v_add_f64 v[0:1], v[36:37], -v[76:77]
	v_add_f64 v[2:3], v[38:39], -v[78:79]
	;; [unrolled: 1-line block ×8, first 2 shown]
	v_fma_f64 v[4:5], v[36:37], 2.0, -v[0:1]
	v_fma_f64 v[6:7], v[38:39], 2.0, -v[2:3]
	;; [unrolled: 1-line block ×6, first 2 shown]
	ds_write_b128 v96, v[4:7] offset:15872
	ds_write_b128 v96, v[0:3] offset:23552
	ds_write_b128 v96, v[12:15] offset:17920
	ds_write_b128 v96, v[8:11] offset:25600
	ds_write_b128 v96, v[20:23] offset:19968
	ds_write_b128 v96, v[16:19] offset:27648
	buffer_load_dword v0, off, s[36:39], 0 offset:2124 ; 4-byte Folded Reload
	v_fma_f64 v[28:29], v[48:49], 2.0, -v[24:25]
	v_fma_f64 v[30:31], v[50:51], 2.0, -v[26:27]
	s_waitcnt vmcnt(0)
	ds_write_b128 v0, v[28:31]
	ds_write_b128 v0, v[24:27] offset:7680
	buffer_load_dword v8, off, s[36:39], 0 offset:2104 ; 4-byte Folded Reload
	v_add_f64 v[0:1], v[52:53], -v[92:93]
	v_add_f64 v[2:3], v[54:55], -v[94:95]
	v_fma_f64 v[4:5], v[52:53], 2.0, -v[0:1]
	v_fma_f64 v[6:7], v[54:55], 2.0, -v[2:3]
	s_waitcnt vmcnt(0)
	ds_write_b128 v8, v[4:7] offset:30720
	ds_write_b128 v8, v[0:3] offset:38400
	buffer_load_dword v8, off, s[36:39], 0 offset:2100 ; 4-byte Folded Reload
	v_add_f64 v[0:1], v[56:57], -v[97:98]
	v_add_f64 v[2:3], v[58:59], -v[99:100]
	v_fma_f64 v[4:5], v[56:57], 2.0, -v[0:1]
	v_fma_f64 v[6:7], v[58:59], 2.0, -v[2:3]
	s_waitcnt vmcnt(0)
	ds_write_b128 v8, v[4:7] offset:30720
	;; [unrolled: 8-line block ×3, first 2 shown]
	ds_write_b128 v8, v[0:3] offset:38400
	buffer_load_dword v8, off, s[36:39], 0 offset:2092 ; 4-byte Folded Reload
	v_add_f64 v[0:1], v[64:65], -v[105:106]
	v_add_f64 v[2:3], v[66:67], -v[107:108]
	v_fma_f64 v[4:5], v[64:65], 2.0, -v[0:1]
	v_fma_f64 v[6:7], v[66:67], 2.0, -v[2:3]
	s_waitcnt vmcnt(0)
	ds_write_b128 v8, v[4:7]
	ds_write_b128 v8, v[0:3] offset:7680
	buffer_load_dword v8, off, s[36:39], 0 offset:2088 ; 4-byte Folded Reload
	v_add_f64 v[0:1], v[68:69], -v[109:110]
	v_add_f64 v[2:3], v[70:71], -v[111:112]
	v_fma_f64 v[4:5], v[68:69], 2.0, -v[0:1]
	v_fma_f64 v[6:7], v[70:71], 2.0, -v[2:3]
	s_waitcnt vmcnt(0)
	ds_write_b128 v8, v[4:7] offset:46080
	ds_write_b128 v8, v[0:3] offset:53760
	buffer_load_dword v8, off, s[36:39], 0 offset:2068 ; 4-byte Folded Reload
	v_add_f64 v[0:1], v[72:73], -v[113:114]
	v_add_f64 v[2:3], v[74:75], -v[115:116]
	v_fma_f64 v[4:5], v[72:73], 2.0, -v[0:1]
	v_fma_f64 v[6:7], v[74:75], 2.0, -v[2:3]
	s_waitcnt vmcnt(0)
	ds_write_b128 v8, v[4:7] offset:46080
	;; [unrolled: 8-line block ×3, first 2 shown]
	ds_write_b128 v8, v[0:3] offset:53760
	s_waitcnt lgkmcnt(0)
	s_barrier
	ds_read_b128 v[0:3], v96 offset:30720
	buffer_load_dword v6, off, s[36:39], 0 offset:2132 ; 4-byte Folded Reload
	buffer_load_dword v7, off, s[36:39], 0 offset:2136 ; 4-byte Folded Reload
	buffer_load_dword v8, off, s[36:39], 0 offset:2140 ; 4-byte Folded Reload
	buffer_load_dword v9, off, s[36:39], 0 offset:2144 ; 4-byte Folded Reload
	s_waitcnt vmcnt(0) lgkmcnt(0)
	v_mul_f64 v[4:5], v[8:9], v[2:3]
	v_fma_f64 v[4:5], v[6:7], v[0:1], v[4:5]
	v_mul_f64 v[0:1], v[8:9], v[0:1]
	v_fma_f64 v[6:7], v[6:7], v[2:3], -v[0:1]
	ds_read_b128 v[0:3], v96 offset:32768
	buffer_load_dword v14, off, s[36:39], 0 offset:2148 ; 4-byte Folded Reload
	buffer_load_dword v15, off, s[36:39], 0 offset:2152 ; 4-byte Folded Reload
	buffer_load_dword v16, off, s[36:39], 0 offset:2156 ; 4-byte Folded Reload
	buffer_load_dword v17, off, s[36:39], 0 offset:2160 ; 4-byte Folded Reload
	s_waitcnt vmcnt(0) lgkmcnt(0)
	v_mul_f64 v[8:9], v[16:17], v[2:3]
	v_fma_f64 v[12:13], v[14:15], v[0:1], v[8:9]
	v_mul_f64 v[0:1], v[16:17], v[0:1]
	v_fma_f64 v[14:15], v[14:15], v[2:3], -v[0:1]
	;; [unrolled: 10-line block ×4, first 2 shown]
	ds_read_b128 v[0:3], v96 offset:38912
	buffer_load_dword v16, off, s[36:39], 0 offset:2196 ; 4-byte Folded Reload
	buffer_load_dword v17, off, s[36:39], 0 offset:2200 ; 4-byte Folded Reload
	;; [unrolled: 1-line block ×4, first 2 shown]
	ds_read_b128 v[24:27], v96 offset:6144
	ds_read_b128 v[32:35], v96 offset:8192
	;; [unrolled: 1-line block ×5, first 2 shown]
	s_waitcnt lgkmcnt(4)
	v_add_f64 v[28:29], v[24:25], -v[28:29]
	v_add_f64 v[30:31], v[26:27], -v[30:31]
	v_fma_f64 v[24:25], v[24:25], 2.0, -v[28:29]
	v_fma_f64 v[26:27], v[26:27], 2.0, -v[30:31]
	s_waitcnt vmcnt(0)
	v_mul_f64 v[8:9], v[18:19], v[2:3]
	v_fma_f64 v[36:37], v[16:17], v[0:1], v[8:9]
	v_mul_f64 v[0:1], v[18:19], v[0:1]
	s_waitcnt lgkmcnt(3)
	v_add_f64 v[36:37], v[32:33], -v[36:37]
	v_fma_f64 v[38:39], v[16:17], v[2:3], -v[0:1]
	ds_read_b128 v[0:3], v96 offset:40960
	ds_read_b128 v[16:19], v96 offset:4096
	s_waitcnt lgkmcnt(1)
	v_mul_f64 v[8:9], v[251:252], v[2:3]
	s_waitcnt lgkmcnt(0)
	v_add_f64 v[20:21], v[16:17], -v[20:21]
	v_add_f64 v[22:23], v[18:19], -v[22:23]
	v_add_f64 v[38:39], v[34:35], -v[38:39]
	v_fma_f64 v[32:33], v[32:33], 2.0, -v[36:37]
	v_fma_f64 v[44:45], v[249:250], v[0:1], v[8:9]
	v_mul_f64 v[0:1], v[251:252], v[0:1]
	v_fma_f64 v[16:17], v[16:17], 2.0, -v[20:21]
	v_fma_f64 v[18:19], v[18:19], 2.0, -v[22:23]
	;; [unrolled: 1-line block ×3, first 2 shown]
	v_add_f64 v[44:45], v[40:41], -v[44:45]
	v_fma_f64 v[46:47], v[249:250], v[2:3], -v[0:1]
	ds_read_b128 v[0:3], v96 offset:43008
	s_waitcnt lgkmcnt(0)
	v_mul_f64 v[8:9], v[247:248], v[2:3]
	v_fma_f64 v[40:41], v[40:41], 2.0, -v[44:45]
	v_add_f64 v[46:47], v[42:43], -v[46:47]
	v_fma_f64 v[52:53], v[245:246], v[0:1], v[8:9]
	v_mul_f64 v[0:1], v[247:248], v[0:1]
	v_fma_f64 v[42:43], v[42:43], 2.0, -v[46:47]
	v_add_f64 v[52:53], v[48:49], -v[52:53]
	v_fma_f64 v[54:55], v[245:246], v[2:3], -v[0:1]
	ds_read_b128 v[0:3], v96 offset:45056
	s_waitcnt lgkmcnt(0)
	v_mul_f64 v[8:9], v[239:240], v[2:3]
	v_fma_f64 v[48:49], v[48:49], 2.0, -v[52:53]
	v_add_f64 v[54:55], v[50:51], -v[54:55]
	v_fma_f64 v[60:61], v[237:238], v[0:1], v[8:9]
	v_mul_f64 v[0:1], v[239:240], v[0:1]
	v_fma_f64 v[50:51], v[50:51], 2.0, -v[54:55]
	;; [unrolled: 10-line block ×3, first 2 shown]
	v_fma_f64 v[94:95], v[229:230], v[2:3], -v[0:1]
	ds_read_b128 v[0:3], v96 offset:49152
	s_waitcnt lgkmcnt(0)
	v_mul_f64 v[8:9], v[235:236], v[2:3]
	v_fma_f64 v[97:98], v[233:234], v[0:1], v[8:9]
	v_mul_f64 v[0:1], v[235:236], v[0:1]
	v_fma_f64 v[99:100], v[233:234], v[2:3], -v[0:1]
	ds_read_b128 v[0:3], v96 offset:51200
	s_waitcnt lgkmcnt(0)
	v_mul_f64 v[8:9], v[223:224], v[2:3]
	v_fma_f64 v[101:102], v[221:222], v[0:1], v[8:9]
	v_mul_f64 v[0:1], v[223:224], v[0:1]
	;; [unrolled: 6-line block ×6, first 2 shown]
	ds_read_b128 v[8:11], v96 offset:2048
	s_waitcnt lgkmcnt(0)
	v_add_f64 v[12:13], v[8:9], -v[12:13]
	v_add_f64 v[14:15], v[10:11], -v[14:15]
	v_fma_f64 v[119:120], v[205:206], v[2:3], -v[0:1]
	ds_read_b128 v[0:3], v96
	ds_read_b128 v[64:67], v96 offset:28672
	ds_read_b128 v[68:71], v96 offset:16384
	;; [unrolled: 1-line block ×7, first 2 shown]
	s_waitcnt lgkmcnt(0)
	s_barrier
	v_add_f64 v[4:5], v[0:1], -v[4:5]
	v_add_f64 v[6:7], v[2:3], -v[6:7]
	v_fma_f64 v[8:9], v[8:9], 2.0, -v[12:13]
	v_fma_f64 v[10:11], v[10:11], 2.0, -v[14:15]
	v_fma_f64 v[0:1], v[0:1], 2.0, -v[4:5]
	v_fma_f64 v[2:3], v[2:3], 2.0, -v[6:7]
	ds_write_b128 v96, v[0:3]
	ds_write_b128 v96, v[4:7] offset:15360
	ds_write_b128 v96, v[8:11] offset:2048
	;; [unrolled: 1-line block ×13, first 2 shown]
	buffer_load_dword v0, off, s[36:39], 0 offset:2212 ; 4-byte Folded Reload
	s_waitcnt vmcnt(0)
	ds_write_b128 v0, v[56:59]
	ds_write_b128 v0, v[60:63] offset:15360
	v_add_f64 v[0:1], v[68:69], -v[92:93]
	v_add_f64 v[2:3], v[70:71], -v[94:95]
	;; [unrolled: 1-line block ×8, first 2 shown]
	v_fma_f64 v[12:13], v[68:69], 2.0, -v[0:1]
	v_fma_f64 v[14:15], v[70:71], 2.0, -v[2:3]
	v_add_f64 v[28:29], v[84:85], -v[109:110]
	v_add_f64 v[30:31], v[86:87], -v[111:112]
	;; [unrolled: 1-line block ×6, first 2 shown]
	v_fma_f64 v[16:17], v[72:73], 2.0, -v[4:5]
	v_fma_f64 v[18:19], v[74:75], 2.0, -v[6:7]
	;; [unrolled: 1-line block ×12, first 2 shown]
	ds_write_b128 v96, v[12:15] offset:31744
	ds_write_b128 v96, v[0:3] offset:47104
	;; [unrolled: 1-line block ×14, first 2 shown]
	s_waitcnt lgkmcnt(0)
	s_barrier
	ds_read_b128 v[0:3], v96 offset:30720
	ds_read_b128 v[4:7], v96
	ds_read_b128 v[8:11], v96 offset:2048
	ds_read_b128 v[12:15], v96 offset:32768
	;; [unrolled: 1-line block ×5, first 2 shown]
	s_waitcnt lgkmcnt(6)
	v_mul_f64 v[44:45], v[243:244], v[2:3]
	s_waitcnt lgkmcnt(3)
	v_mul_f64 v[48:49], v[219:220], v[14:15]
	v_mul_f64 v[50:51], v[219:220], v[12:13]
	;; [unrolled: 1-line block ×3, first 2 shown]
	s_waitcnt lgkmcnt(2)
	v_mul_f64 v[54:55], v[203:204], v[18:19]
	ds_read_b128 v[28:31], v96 offset:36864
	ds_read_b128 v[32:35], v96 offset:38912
	;; [unrolled: 1-line block ×4, first 2 shown]
	v_mul_f64 v[58:59], v[203:204], v[16:17]
	v_fma_f64 v[52:53], v[241:242], v[0:1], v[44:45]
	v_fma_f64 v[60:61], v[217:218], v[12:13], v[48:49]
	s_waitcnt lgkmcnt(3)
	v_mul_f64 v[48:49], v[199:200], v[30:31]
	v_fma_f64 v[62:63], v[217:218], v[14:15], -v[50:51]
	v_mul_f64 v[50:51], v[199:200], v[28:29]
	v_fma_f64 v[56:57], v[241:242], v[2:3], -v[46:47]
	ds_read_b128 v[0:3], v96 offset:40960
	ds_read_b128 v[44:47], v96 offset:43008
	v_fma_f64 v[64:65], v[201:202], v[16:17], v[54:55]
	s_waitcnt lgkmcnt(4)
	v_mul_f64 v[54:55], v[195:196], v[34:35]
	v_mul_f64 v[66:67], v[195:196], v[32:33]
	v_fma_f64 v[68:69], v[197:198], v[28:29], v[48:49]
	s_waitcnt lgkmcnt(1)
	v_mul_f64 v[48:49], v[191:192], v[2:3]
	v_fma_f64 v[70:71], v[197:198], v[30:31], -v[50:51]
	v_mul_f64 v[50:51], v[191:192], v[0:1]
	v_fma_f64 v[58:59], v[201:202], v[18:19], -v[58:59]
	ds_read_b128 v[12:15], v96 offset:12288
	ds_read_b128 v[16:19], v96 offset:14336
	v_fma_f64 v[72:73], v[193:194], v[32:33], v[54:55]
	s_waitcnt lgkmcnt(2)
	v_mul_f64 v[54:55], v[187:188], v[46:47]
	v_fma_f64 v[74:75], v[193:194], v[34:35], -v[66:67]
	ds_read_b128 v[28:31], v96 offset:45056
	ds_read_b128 v[32:35], v96 offset:47104
	v_fma_f64 v[76:77], v[189:190], v[0:1], v[48:49]
	v_mul_f64 v[48:49], v[187:188], v[44:45]
	v_fma_f64 v[78:79], v[189:190], v[2:3], -v[50:51]
	s_waitcnt lgkmcnt(1)
	v_mul_f64 v[50:51], v[183:184], v[30:31]
	ds_read_b128 v[0:3], v96 offset:49152
	v_fma_f64 v[80:81], v[185:186], v[44:45], v[54:55]
	v_mul_f64 v[54:55], v[183:184], v[28:29]
	s_waitcnt lgkmcnt(1)
	v_mul_f64 v[66:67], v[179:180], v[34:35]
	v_mul_f64 v[82:83], v[179:180], v[32:33]
	v_fma_f64 v[84:85], v[185:186], v[46:47], -v[48:49]
	ds_read_b128 v[44:47], v96 offset:51200
	s_waitcnt lgkmcnt(1)
	v_mul_f64 v[48:49], v[175:176], v[2:3]
	v_fma_f64 v[86:87], v[181:182], v[28:29], v[50:51]
	v_mul_f64 v[50:51], v[175:176], v[0:1]
	v_fma_f64 v[88:89], v[181:182], v[30:31], -v[54:55]
	s_waitcnt lgkmcnt(0)
	v_mul_f64 v[54:55], v[171:172], v[46:47]
	v_fma_f64 v[90:91], v[177:178], v[32:33], v[66:67]
	v_fma_f64 v[92:93], v[177:178], v[34:35], -v[82:83]
	ds_read_b128 v[28:31], v96 offset:53248
	ds_read_b128 v[32:35], v96 offset:55296
	v_fma_f64 v[94:95], v[173:174], v[0:1], v[48:49]
	v_mul_f64 v[48:49], v[171:172], v[44:45]
	v_fma_f64 v[97:98], v[173:174], v[2:3], -v[50:51]
	s_waitcnt lgkmcnt(1)
	v_mul_f64 v[50:51], v[167:168], v[30:31]
	v_mul_f64 v[66:67], v[167:168], v[28:29]
	v_fma_f64 v[99:100], v[169:170], v[44:45], v[54:55]
	s_waitcnt lgkmcnt(0)
	v_mul_f64 v[54:55], v[163:164], v[34:35]
	ds_read_b128 v[0:3], v96 offset:57344
	v_mul_f64 v[82:83], v[163:164], v[32:33]
	v_fma_f64 v[101:102], v[169:170], v[46:47], -v[48:49]
	ds_read_b128 v[44:47], v96 offset:59392
	v_fma_f64 v[103:104], v[165:166], v[28:29], v[50:51]
	s_waitcnt lgkmcnt(1)
	v_mul_f64 v[48:49], v[159:160], v[2:3]
	v_mul_f64 v[50:51], v[159:160], v[0:1]
	v_fma_f64 v[105:106], v[165:166], v[30:31], -v[66:67]
	v_fma_f64 v[107:108], v[161:162], v[32:33], v[54:55]
	s_waitcnt lgkmcnt(0)
	v_mul_f64 v[54:55], v[155:156], v[46:47]
	v_mul_f64 v[66:67], v[155:156], v[44:45]
	v_fma_f64 v[109:110], v[161:162], v[34:35], -v[82:83]
	ds_read_b128 v[28:31], v96 offset:16384
	ds_read_b128 v[32:35], v96 offset:18432
	v_fma_f64 v[111:112], v[157:158], v[0:1], v[48:49]
	v_fma_f64 v[113:114], v[157:158], v[2:3], -v[50:51]
	ds_read_b128 v[0:3], v96 offset:20480
	ds_read_b128 v[48:51], v96 offset:22528
	v_add_f64 v[58:59], v[22:23], -v[58:59]
	v_fma_f64 v[117:118], v[153:154], v[44:45], v[54:55]
	v_fma_f64 v[119:120], v[153:154], v[46:47], -v[66:67]
	v_add_f64 v[44:45], v[4:5], -v[52:53]
	v_add_f64 v[46:47], v[6:7], -v[56:57]
	;; [unrolled: 1-line block ×5, first 2 shown]
	ds_read_b128 v[60:63], v96 offset:24576
	ds_read_b128 v[64:67], v96 offset:26624
	v_add_f64 v[82:83], v[14:15], -v[84:85]
	v_add_f64 v[84:85], v[16:17], -v[86:87]
	v_add_f64 v[86:87], v[18:19], -v[88:89]
	s_waitcnt lgkmcnt(5)
	v_add_f64 v[88:89], v[28:29], -v[90:91]
	v_add_f64 v[90:91], v[30:31], -v[92:93]
	s_waitcnt lgkmcnt(4)
	v_add_f64 v[92:93], v[32:33], -v[94:95]
	v_add_f64 v[94:95], v[34:35], -v[97:98]
	;; [unrolled: 3-line block ×6, first 2 shown]
	ds_read_b128 v[113:116], v96 offset:28672
	v_add_f64 v[68:69], v[24:25], -v[68:69]
	v_add_f64 v[70:71], v[26:27], -v[70:71]
	v_fma_f64 v[4:5], v[4:5], 2.0, -v[44:45]
	v_fma_f64 v[6:7], v[6:7], 2.0, -v[46:47]
	v_add_f64 v[72:73], v[36:37], -v[72:73]
	v_add_f64 v[74:75], v[38:39], -v[74:75]
	;; [unrolled: 1-line block ×5, first 2 shown]
	s_waitcnt lgkmcnt(0)
	v_add_f64 v[117:118], v[113:114], -v[117:118]
	v_add_f64 v[119:120], v[115:116], -v[119:120]
	v_fma_f64 v[8:9], v[8:9], 2.0, -v[52:53]
	v_fma_f64 v[10:11], v[10:11], 2.0, -v[54:55]
	;; [unrolled: 1-line block ×11, first 2 shown]
	ds_write_b128 v96, v[4:7]
	v_fma_f64 v[40:41], v[40:41], 2.0, -v[76:77]
	v_fma_f64 v[42:43], v[42:43], 2.0, -v[78:79]
	;; [unrolled: 1-line block ×17, first 2 shown]
	buffer_load_dword v123, off, s[36:39], 0 offset:384 ; 4-byte Folded Reload
	buffer_load_dword v124, off, s[36:39], 0 offset:388 ; 4-byte Folded Reload
	ds_write_b128 v96, v[44:47] offset:30720
	ds_write_b128 v96, v[8:11] offset:2048
	;; [unrolled: 1-line block ×29, first 2 shown]
	s_waitcnt vmcnt(0) lgkmcnt(0)
	s_barrier
	ds_read_b128 v[4:7], v96
	buffer_load_dword v13, off, s[36:39], 0 offset:472 ; 4-byte Folded Reload
	buffer_load_dword v14, off, s[36:39], 0 offset:476 ; 4-byte Folded Reload
	;; [unrolled: 1-line block ×4, first 2 shown]
	v_mov_b32_e32 v24, s3
	s_mul_hi_u32 s3, s8, 0x1800
	v_mad_u64_u32 v[121:122], s[0:1], s10, v123, 0
	v_mov_b32_e32 v0, v122
	v_mad_u64_u32 v[10:11], s[0:1], s11, v123, v[0:1]
	s_waitcnt vmcnt(0) lgkmcnt(0)
	v_mul_f64 v[8:9], v[15:16], v[6:7]
	v_mul_f64 v[11:12], v[15:16], v[4:5]
	ds_read_b128 v[0:3], v96 offset:2048
	v_mov_b32_e32 v122, v10
	v_lshlrev_b64 v[18:19], 4, v[121:122]
	v_add_co_u32_e32 v25, vcc, s2, v18
	v_fma_f64 v[4:5], v[13:14], v[4:5], v[8:9]
	buffer_load_dword v9, off, s[36:39], 0 offset:2216 ; 4-byte Folded Reload
	v_fma_f64 v[6:7], v[13:14], v[6:7], -v[11:12]
	v_addc_co_u32_e32 v26, vcc, v24, v19, vcc
	s_mul_i32 s2, s9, 0x1800
	s_add_i32 s2, s3, s2
	s_mul_i32 s3, s8, 0x1800
	v_mov_b32_e32 v35, s2
	v_mov_b32_e32 v43, s2
	;; [unrolled: 1-line block ×3, first 2 shown]
	s_waitcnt vmcnt(0)
	v_mad_u64_u32 v[16:17], s[0:1], s8, v9, 0
	s_mov_b32 s0, 0x11111111
	s_mov_b32 s1, 0x3f311111
	v_mov_b32_e32 v8, v17
	v_mad_u64_u32 v[12:13], s[4:5], s9, v9, v[8:9]
	ds_read_b128 v[8:11], v96 offset:6144
	v_mul_f64 v[4:5], v[4:5], s[0:1]
	v_mov_b32_e32 v17, v12
	ds_read_b128 v[12:15], v96 offset:4096
	buffer_load_dword v27, off, s[36:39], 0 offset:192 ; 4-byte Folded Reload
	buffer_load_dword v28, off, s[36:39], 0 offset:196 ; 4-byte Folded Reload
	buffer_load_dword v29, off, s[36:39], 0 offset:200 ; 4-byte Folded Reload
	buffer_load_dword v30, off, s[36:39], 0 offset:204 ; 4-byte Folded Reload
	v_mul_f64 v[6:7], v[6:7], s[0:1]
	v_lshlrev_b64 v[16:17], 4, v[16:17]
	v_add_co_u32_e32 v24, vcc, v25, v16
	v_addc_co_u32_e32 v25, vcc, v26, v17, vcc
	v_add_co_u32_e32 v34, vcc, s3, v24
	global_store_dwordx4 v[24:25], v[4:7], off
	v_addc_co_u32_e32 v35, vcc, v25, v35, vcc
	s_waitcnt vmcnt(1) lgkmcnt(1)
	v_mul_f64 v[20:21], v[29:30], v[10:11]
	v_mul_f64 v[22:23], v[29:30], v[8:9]
	v_fma_f64 v[18:19], v[27:28], v[8:9], v[20:21]
	v_fma_f64 v[20:21], v[27:28], v[10:11], -v[22:23]
	ds_read_b128 v[8:11], v96 offset:12288
	v_mul_f64 v[4:5], v[18:19], s[0:1]
	ds_read_b128 v[16:19], v96 offset:14336
	buffer_load_dword v30, off, s[36:39], 0 offset:176 ; 4-byte Folded Reload
	buffer_load_dword v31, off, s[36:39], 0 offset:180 ; 4-byte Folded Reload
	;; [unrolled: 1-line block ×4, first 2 shown]
	v_mul_f64 v[6:7], v[20:21], s[0:1]
	ds_read_b128 v[20:23], v96 offset:18432
	s_waitcnt vmcnt(0) lgkmcnt(2)
	v_mul_f64 v[26:27], v[32:33], v[10:11]
	v_mul_f64 v[28:29], v[32:33], v[8:9]
	v_fma_f64 v[26:27], v[30:31], v[8:9], v[26:27]
	v_fma_f64 v[28:29], v[30:31], v[10:11], -v[28:29]
	ds_read_b128 v[8:11], v96 offset:16384
	buffer_load_dword v36, off, s[36:39], 0 offset:160 ; 4-byte Folded Reload
	buffer_load_dword v37, off, s[36:39], 0 offset:164 ; 4-byte Folded Reload
	;; [unrolled: 1-line block ×4, first 2 shown]
	s_waitcnt vmcnt(0) lgkmcnt(1)
	v_mul_f64 v[30:31], v[38:39], v[22:23]
	v_mul_f64 v[32:33], v[38:39], v[20:21]
	global_store_dwordx4 v[34:35], v[4:7], off
	v_mov_b32_e32 v38, s2
	v_mul_f64 v[4:5], v[26:27], s[0:1]
	v_mul_f64 v[6:7], v[28:29], s[0:1]
	ds_read_b128 v[24:27], v96 offset:24576
	v_add_co_u32_e32 v34, vcc, s3, v34
	v_fma_f64 v[28:29], v[36:37], v[20:21], v[30:31]
	v_fma_f64 v[30:31], v[36:37], v[22:23], -v[32:33]
	ds_read_b128 v[20:23], v96 offset:26624
	buffer_load_dword v39, off, s[36:39], 0 offset:144 ; 4-byte Folded Reload
	buffer_load_dword v40, off, s[36:39], 0 offset:148 ; 4-byte Folded Reload
	;; [unrolled: 1-line block ×4, first 2 shown]
	v_addc_co_u32_e32 v35, vcc, v35, v38, vcc
	global_store_dwordx4 v[34:35], v[4:7], off
	s_waitcnt vmcnt(1) lgkmcnt(1)
	v_mul_f64 v[32:33], v[41:42], v[26:27]
	v_mul_f64 v[36:37], v[41:42], v[24:25]
	;; [unrolled: 1-line block ×4, first 2 shown]
	ds_read_b128 v[28:31], v96 offset:30720
	v_add_co_u32_e32 v42, vcc, s3, v34
	v_addc_co_u32_e32 v43, vcc, v35, v43, vcc
	v_fma_f64 v[32:33], v[39:40], v[24:25], v[32:33]
	v_fma_f64 v[36:37], v[39:40], v[26:27], -v[36:37]
	ds_read_b128 v[24:27], v96 offset:28672
	buffer_load_dword v44, off, s[36:39], 0 offset:128 ; 4-byte Folded Reload
	buffer_load_dword v45, off, s[36:39], 0 offset:132 ; 4-byte Folded Reload
	;; [unrolled: 1-line block ×4, first 2 shown]
	s_waitcnt vmcnt(0) lgkmcnt(1)
	v_mul_f64 v[38:39], v[46:47], v[30:31]
	v_mul_f64 v[40:41], v[46:47], v[28:29]
	global_store_dwordx4 v[42:43], v[4:7], off
	v_mov_b32_e32 v46, s2
	v_mul_f64 v[4:5], v[32:33], s[0:1]
	v_mul_f64 v[6:7], v[36:37], s[0:1]
	ds_read_b128 v[32:35], v96 offset:36864
	v_add_co_u32_e32 v42, vcc, s3, v42
	v_fma_f64 v[36:37], v[44:45], v[28:29], v[38:39]
	v_fma_f64 v[38:39], v[44:45], v[30:31], -v[40:41]
	ds_read_b128 v[28:31], v96 offset:38912
	buffer_load_dword v47, off, s[36:39], 0 offset:112 ; 4-byte Folded Reload
	buffer_load_dword v48, off, s[36:39], 0 offset:116 ; 4-byte Folded Reload
	;; [unrolled: 1-line block ×4, first 2 shown]
	v_addc_co_u32_e32 v43, vcc, v43, v46, vcc
	global_store_dwordx4 v[42:43], v[4:7], off
	s_waitcnt vmcnt(1) lgkmcnt(1)
	v_mul_f64 v[40:41], v[49:50], v[34:35]
	v_mul_f64 v[44:45], v[49:50], v[32:33]
	;; [unrolled: 1-line block ×4, first 2 shown]
	ds_read_b128 v[36:39], v96 offset:43008
	v_add_co_u32_e32 v50, vcc, s3, v42
	v_addc_co_u32_e32 v51, vcc, v43, v51, vcc
	v_fma_f64 v[40:41], v[47:48], v[32:33], v[40:41]
	v_fma_f64 v[44:45], v[47:48], v[34:35], -v[44:45]
	ds_read_b128 v[32:35], v96 offset:40960
	buffer_load_dword v52, off, s[36:39], 0 offset:96 ; 4-byte Folded Reload
	buffer_load_dword v53, off, s[36:39], 0 offset:100 ; 4-byte Folded Reload
	;; [unrolled: 1-line block ×4, first 2 shown]
	s_waitcnt vmcnt(0) lgkmcnt(1)
	v_mul_f64 v[46:47], v[54:55], v[38:39]
	v_mul_f64 v[48:49], v[54:55], v[36:37]
	global_store_dwordx4 v[50:51], v[4:7], off
	v_mov_b32_e32 v54, s2
	v_mul_f64 v[4:5], v[40:41], s[0:1]
	v_mul_f64 v[6:7], v[44:45], s[0:1]
	ds_read_b128 v[40:43], v96 offset:49152
	v_add_co_u32_e32 v50, vcc, s3, v50
	v_fma_f64 v[44:45], v[52:53], v[36:37], v[46:47]
	v_fma_f64 v[46:47], v[52:53], v[38:39], -v[48:49]
	ds_read_b128 v[36:39], v96 offset:51200
	buffer_load_dword v55, off, s[36:39], 0 offset:80 ; 4-byte Folded Reload
	buffer_load_dword v56, off, s[36:39], 0 offset:84 ; 4-byte Folded Reload
	;; [unrolled: 1-line block ×4, first 2 shown]
	v_addc_co_u32_e32 v51, vcc, v51, v54, vcc
	global_store_dwordx4 v[50:51], v[4:7], off
	v_add_co_u32_e32 v50, vcc, s3, v50
	v_mul_f64 v[4:5], v[44:45], s[0:1]
	v_mul_f64 v[6:7], v[46:47], s[0:1]
	ds_read_b128 v[44:47], v96 offset:55296
	s_waitcnt vmcnt(1) lgkmcnt(2)
	v_mul_f64 v[48:49], v[57:58], v[42:43]
	v_mul_f64 v[52:53], v[57:58], v[40:41]
	v_mov_b32_e32 v58, s2
	v_addc_co_u32_e32 v51, vcc, v51, v58, vcc
	v_fma_f64 v[48:49], v[55:56], v[40:41], v[48:49]
	v_fma_f64 v[52:53], v[55:56], v[42:43], -v[52:53]
	ds_read_b128 v[40:43], v96 offset:53248
	buffer_load_dword v59, off, s[36:39], 0 offset:32 ; 4-byte Folded Reload
	buffer_load_dword v60, off, s[36:39], 0 offset:36 ; 4-byte Folded Reload
	;; [unrolled: 1-line block ×4, first 2 shown]
	s_waitcnt vmcnt(0) lgkmcnt(1)
	v_mul_f64 v[54:55], v[61:62], v[46:47]
	v_mul_f64 v[56:57], v[61:62], v[44:45]
	global_store_dwordx4 v[50:51], v[4:7], off
	v_add_co_u32_e32 v50, vcc, s3, v50
	v_mul_f64 v[4:5], v[48:49], s[0:1]
	v_mul_f64 v[6:7], v[52:53], s[0:1]
	v_addc_co_u32_e32 v51, vcc, v51, v58, vcc
	v_fma_f64 v[44:45], v[59:60], v[44:45], v[54:55]
	v_fma_f64 v[46:47], v[59:60], v[46:47], -v[56:57]
	buffer_load_dword v54, off, s[36:39], 0 offset:64 ; 4-byte Folded Reload
	buffer_load_dword v55, off, s[36:39], 0 offset:68 ; 4-byte Folded Reload
	;; [unrolled: 1-line block ×4, first 2 shown]
	v_mov_b32_e32 v59, 0xffff3000
	global_store_dwordx4 v[50:51], v[4:7], off
	v_add_co_u32_e32 v50, vcc, s3, v50
	v_mul_f64 v[4:5], v[44:45], s[0:1]
	v_mul_f64 v[6:7], v[46:47], s[0:1]
	ds_read_b128 v[44:47], v96 offset:8192
	v_addc_co_u32_e32 v51, vcc, v51, v58, vcc
	s_waitcnt vmcnt(1)
	v_mul_f64 v[48:49], v[56:57], v[2:3]
	v_mul_f64 v[52:53], v[56:57], v[0:1]
	v_fma_f64 v[48:49], v[54:55], v[0:1], v[48:49]
	v_fma_f64 v[52:53], v[54:55], v[2:3], -v[52:53]
	ds_read_b128 v[0:3], v96 offset:10240
	buffer_load_dword v60, off, s[36:39], 0 offset:48 ; 4-byte Folded Reload
	buffer_load_dword v61, off, s[36:39], 0 offset:52 ; 4-byte Folded Reload
	;; [unrolled: 1-line block ×4, first 2 shown]
	s_waitcnt vmcnt(0) lgkmcnt(1)
	v_mul_f64 v[54:55], v[62:63], v[46:47]
	v_mul_f64 v[56:57], v[62:63], v[44:45]
	global_store_dwordx4 v[50:51], v[4:7], off
	v_fma_f64 v[44:45], v[60:61], v[44:45], v[54:55]
	v_fma_f64 v[46:47], v[60:61], v[46:47], -v[56:57]
	buffer_load_dword v54, off, s[36:39], 0 offset:16 ; 4-byte Folded Reload
	buffer_load_dword v55, off, s[36:39], 0 offset:20 ; 4-byte Folded Reload
	;; [unrolled: 1-line block ×4, first 2 shown]
	v_mul_f64 v[4:5], v[48:49], s[0:1]
	v_mul_f64 v[6:7], v[52:53], s[0:1]
	v_mad_u64_u32 v[48:49], s[4:5], s8, v59, v[50:51]
	s_mul_i32 s4, s9, 0xffff3000
	s_sub_i32 s6, s4, s8
	v_add_u32_e32 v49, s6, v49
	global_store_dwordx4 v[48:49], v[4:7], off
	s_nop 0
	v_mul_f64 v[4:5], v[44:45], s[0:1]
	v_mul_f64 v[6:7], v[46:47], s[0:1]
	ds_read_b128 v[44:47], v96 offset:20480
	v_add_co_u32_e32 v48, vcc, s3, v48
	v_addc_co_u32_e32 v49, vcc, v49, v58, vcc
	s_waitcnt vmcnt(1)
	v_mul_f64 v[50:51], v[56:57], v[18:19]
	v_mul_f64 v[52:53], v[56:57], v[16:17]
	v_fma_f64 v[50:51], v[54:55], v[16:17], v[50:51]
	v_fma_f64 v[52:53], v[54:55], v[18:19], -v[52:53]
	ds_read_b128 v[16:19], v96 offset:22528
	buffer_load_dword v60, off, s[36:39], 0 ; 4-byte Folded Reload
	buffer_load_dword v61, off, s[36:39], 0 offset:4 ; 4-byte Folded Reload
	buffer_load_dword v62, off, s[36:39], 0 offset:8 ; 4-byte Folded Reload
	;; [unrolled: 1-line block ×3, first 2 shown]
	s_waitcnt vmcnt(0) lgkmcnt(1)
	v_mul_f64 v[54:55], v[62:63], v[46:47]
	v_mul_f64 v[56:57], v[62:63], v[44:45]
	global_store_dwordx4 v[48:49], v[4:7], off
	v_add_co_u32_e32 v48, vcc, s3, v48
	v_mul_f64 v[4:5], v[50:51], s[0:1]
	v_mul_f64 v[6:7], v[52:53], s[0:1]
	v_addc_co_u32_e32 v49, vcc, v49, v58, vcc
	v_fma_f64 v[44:45], v[60:61], v[44:45], v[54:55]
	v_fma_f64 v[46:47], v[60:61], v[46:47], -v[56:57]
	buffer_load_dword v54, off, s[36:39], 0 offset:456 ; 4-byte Folded Reload
	buffer_load_dword v55, off, s[36:39], 0 offset:460 ; 4-byte Folded Reload
	buffer_load_dword v56, off, s[36:39], 0 offset:464 ; 4-byte Folded Reload
	buffer_load_dword v57, off, s[36:39], 0 offset:468 ; 4-byte Folded Reload
	s_waitcnt vmcnt(0)
	v_mul_f64 v[50:51], v[56:57], v[22:23]
	v_mul_f64 v[52:53], v[56:57], v[20:21]
	global_store_dwordx4 v[48:49], v[4:7], off
	v_add_co_u32_e32 v48, vcc, s3, v48
	v_mul_f64 v[4:5], v[44:45], s[0:1]
	v_mul_f64 v[6:7], v[46:47], s[0:1]
	ds_read_b128 v[44:47], v96 offset:32768
	v_fma_f64 v[50:51], v[54:55], v[20:21], v[50:51]
	v_fma_f64 v[52:53], v[54:55], v[22:23], -v[52:53]
	ds_read_b128 v[20:23], v96 offset:34816
	buffer_load_dword v60, off, s[36:39], 0 offset:440 ; 4-byte Folded Reload
	buffer_load_dword v61, off, s[36:39], 0 offset:444 ; 4-byte Folded Reload
	buffer_load_dword v62, off, s[36:39], 0 offset:448 ; 4-byte Folded Reload
	buffer_load_dword v63, off, s[36:39], 0 offset:452 ; 4-byte Folded Reload
	v_addc_co_u32_e32 v49, vcc, v49, v58, vcc
	global_store_dwordx4 v[48:49], v[4:7], off
	v_add_co_u32_e32 v48, vcc, s3, v48
	v_mul_f64 v[4:5], v[50:51], s[0:1]
	v_mul_f64 v[6:7], v[52:53], s[0:1]
	v_addc_co_u32_e32 v49, vcc, v49, v58, vcc
	s_waitcnt vmcnt(1) lgkmcnt(1)
	v_mul_f64 v[54:55], v[62:63], v[46:47]
	v_mul_f64 v[56:57], v[62:63], v[44:45]
	v_fma_f64 v[44:45], v[60:61], v[44:45], v[54:55]
	v_fma_f64 v[46:47], v[60:61], v[46:47], -v[56:57]
	buffer_load_dword v54, off, s[36:39], 0 offset:424 ; 4-byte Folded Reload
	buffer_load_dword v55, off, s[36:39], 0 offset:428 ; 4-byte Folded Reload
	buffer_load_dword v56, off, s[36:39], 0 offset:432 ; 4-byte Folded Reload
	buffer_load_dword v57, off, s[36:39], 0 offset:436 ; 4-byte Folded Reload
	s_waitcnt vmcnt(0)
	v_mul_f64 v[50:51], v[56:57], v[30:31]
	v_mul_f64 v[52:53], v[56:57], v[28:29]
	global_store_dwordx4 v[48:49], v[4:7], off
	v_add_co_u32_e32 v48, vcc, s3, v48
	v_mul_f64 v[4:5], v[44:45], s[0:1]
	v_mul_f64 v[6:7], v[46:47], s[0:1]
	ds_read_b128 v[44:47], v96 offset:45056
	v_fma_f64 v[50:51], v[54:55], v[28:29], v[50:51]
	v_fma_f64 v[52:53], v[54:55], v[30:31], -v[52:53]
	ds_read_b128 v[28:31], v96 offset:47104
	buffer_load_dword v60, off, s[36:39], 0 offset:392 ; 4-byte Folded Reload
	buffer_load_dword v61, off, s[36:39], 0 offset:396 ; 4-byte Folded Reload
	buffer_load_dword v62, off, s[36:39], 0 offset:400 ; 4-byte Folded Reload
	buffer_load_dword v63, off, s[36:39], 0 offset:404 ; 4-byte Folded Reload
	v_addc_co_u32_e32 v49, vcc, v49, v58, vcc
	global_store_dwordx4 v[48:49], v[4:7], off
	v_add_co_u32_e32 v48, vcc, s3, v48
	v_mul_f64 v[4:5], v[50:51], s[0:1]
	v_mul_f64 v[6:7], v[52:53], s[0:1]
	v_addc_co_u32_e32 v49, vcc, v49, v58, vcc
	s_waitcnt vmcnt(1) lgkmcnt(1)
	v_mul_f64 v[54:55], v[62:63], v[46:47]
	v_mul_f64 v[56:57], v[62:63], v[44:45]
	;; [unrolled: 30-line block ×3, first 2 shown]
	v_fma_f64 v[44:45], v[60:61], v[44:45], v[54:55]
	v_fma_f64 v[46:47], v[60:61], v[46:47], -v[56:57]
	buffer_load_dword v60, off, s[36:39], 0 offset:336 ; 4-byte Folded Reload
	buffer_load_dword v61, off, s[36:39], 0 offset:340 ; 4-byte Folded Reload
	;; [unrolled: 1-line block ×4, first 2 shown]
	v_mov_b32_e32 v54, s2
	global_store_dwordx4 v[48:49], v[4:7], off
	v_add_co_u32_e32 v48, vcc, s3, v48
	v_addc_co_u32_e32 v49, vcc, v49, v54, vcc
	v_mul_f64 v[4:5], v[44:45], s[0:1]
	v_mul_f64 v[6:7], v[46:47], s[0:1]
	s_waitcnt vmcnt(1)
	v_mul_f64 v[50:51], v[62:63], v[14:15]
	v_mul_f64 v[52:53], v[62:63], v[12:13]
	v_fma_f64 v[12:13], v[60:61], v[12:13], v[50:51]
	v_fma_f64 v[14:15], v[60:61], v[14:15], -v[52:53]
	buffer_load_dword v50, off, s[36:39], 0 offset:304 ; 4-byte Folded Reload
	buffer_load_dword v51, off, s[36:39], 0 offset:308 ; 4-byte Folded Reload
	;; [unrolled: 1-line block ×4, first 2 shown]
	v_mul_f64 v[12:13], v[12:13], s[0:1]
	v_mul_f64 v[14:15], v[14:15], s[0:1]
	s_waitcnt vmcnt(0)
	v_mul_f64 v[44:45], v[52:53], v[2:3]
	v_mul_f64 v[46:47], v[52:53], v[0:1]
	buffer_load_dword v52, off, s[36:39], 0 offset:352 ; 4-byte Folded Reload
	buffer_load_dword v53, off, s[36:39], 0 offset:356 ; 4-byte Folded Reload
	;; [unrolled: 1-line block ×4, first 2 shown]
	v_fma_f64 v[0:1], v[50:51], v[0:1], v[44:45]
	v_fma_f64 v[2:3], v[50:51], v[2:3], -v[46:47]
	v_mad_u64_u32 v[44:45], s[4:5], s8, v59, v[48:49]
	global_store_dwordx4 v[48:49], v[4:7], off
	v_add_u32_e32 v45, s6, v45
	global_store_dwordx4 v[44:45], v[12:15], off
	v_mul_f64 v[0:1], v[0:1], s[0:1]
	v_mul_f64 v[2:3], v[2:3], s[0:1]
	v_mov_b32_e32 v13, s2
	v_add_co_u32_e32 v12, vcc, s3, v44
	v_addc_co_u32_e32 v13, vcc, v45, v13, vcc
	v_mov_b32_e32 v14, s2
	s_waitcnt vmcnt(2)
	v_mul_f64 v[46:47], v[54:55], v[10:11]
	v_mul_f64 v[50:51], v[54:55], v[8:9]
	v_fma_f64 v[4:5], v[52:53], v[8:9], v[46:47]
	buffer_load_dword v46, off, s[36:39], 0 offset:320 ; 4-byte Folded Reload
	buffer_load_dword v47, off, s[36:39], 0 offset:324 ; 4-byte Folded Reload
	;; [unrolled: 1-line block ×4, first 2 shown]
	v_fma_f64 v[6:7], v[52:53], v[10:11], -v[50:51]
	global_store_dwordx4 v[12:13], v[0:3], off
	v_add_co_u32_e32 v12, vcc, s3, v12
	v_addc_co_u32_e32 v13, vcc, v13, v14, vcc
	v_mul_f64 v[0:1], v[4:5], s[0:1]
	v_mul_f64 v[2:3], v[6:7], s[0:1]
	s_waitcnt vmcnt(1)
	v_mul_f64 v[8:9], v[48:49], v[18:19]
	v_mul_f64 v[10:11], v[48:49], v[16:17]
	v_fma_f64 v[4:5], v[46:47], v[16:17], v[8:9]
	v_fma_f64 v[6:7], v[46:47], v[18:19], -v[10:11]
	buffer_load_dword v15, off, s[36:39], 0 offset:272 ; 4-byte Folded Reload
	buffer_load_dword v16, off, s[36:39], 0 offset:276 ; 4-byte Folded Reload
	buffer_load_dword v17, off, s[36:39], 0 offset:280 ; 4-byte Folded Reload
	buffer_load_dword v18, off, s[36:39], 0 offset:284 ; 4-byte Folded Reload
	s_waitcnt vmcnt(0)
	v_mul_f64 v[8:9], v[17:18], v[26:27]
	v_mul_f64 v[10:11], v[17:18], v[24:25]
	global_store_dwordx4 v[12:13], v[0:3], off
	v_add_co_u32_e32 v12, vcc, s3, v12
	v_mul_f64 v[0:1], v[4:5], s[0:1]
	v_mul_f64 v[2:3], v[6:7], s[0:1]
	v_addc_co_u32_e32 v13, vcc, v13, v14, vcc
	v_fma_f64 v[4:5], v[15:16], v[24:25], v[8:9]
	v_fma_f64 v[6:7], v[15:16], v[26:27], -v[10:11]
	buffer_load_dword v15, off, s[36:39], 0 offset:240 ; 4-byte Folded Reload
	buffer_load_dword v16, off, s[36:39], 0 offset:244 ; 4-byte Folded Reload
	buffer_load_dword v17, off, s[36:39], 0 offset:248 ; 4-byte Folded Reload
	buffer_load_dword v18, off, s[36:39], 0 offset:252 ; 4-byte Folded Reload
	s_waitcnt vmcnt(0)
	v_mul_f64 v[8:9], v[17:18], v[22:23]
	v_mul_f64 v[10:11], v[17:18], v[20:21]
	global_store_dwordx4 v[12:13], v[0:3], off
	v_add_co_u32_e32 v12, vcc, s3, v12
	v_mul_f64 v[0:1], v[4:5], s[0:1]
	v_mul_f64 v[2:3], v[6:7], s[0:1]
	v_addc_co_u32_e32 v13, vcc, v13, v14, vcc
	;; [unrolled: 14-line block ×3, first 2 shown]
	v_fma_f64 v[4:5], v[15:16], v[32:33], v[8:9]
	v_fma_f64 v[6:7], v[15:16], v[34:35], -v[10:11]
	buffer_load_dword v15, off, s[36:39], 0 offset:256 ; 4-byte Folded Reload
	buffer_load_dword v16, off, s[36:39], 0 offset:260 ; 4-byte Folded Reload
	;; [unrolled: 1-line block ×4, first 2 shown]
	s_waitcnt vmcnt(0)
	v_mul_f64 v[8:9], v[17:18], v[30:31]
	v_mul_f64 v[10:11], v[17:18], v[28:29]
	global_store_dwordx4 v[12:13], v[0:3], off
	v_mov_b32_e32 v18, s2
	v_mul_f64 v[0:1], v[4:5], s[0:1]
	v_mul_f64 v[2:3], v[6:7], s[0:1]
	v_fma_f64 v[4:5], v[15:16], v[28:29], v[8:9]
	v_add_co_u32_e32 v8, vcc, s3, v12
	v_fma_f64 v[6:7], v[15:16], v[30:31], -v[10:11]
	v_addc_co_u32_e32 v9, vcc, v13, v14, vcc
	buffer_load_dword v14, off, s[36:39], 0 offset:224 ; 4-byte Folded Reload
	buffer_load_dword v15, off, s[36:39], 0 offset:228 ; 4-byte Folded Reload
	;; [unrolled: 1-line block ×8, first 2 shown]
	s_waitcnt vmcnt(4)
	v_mul_f64 v[10:11], v[16:17], v[42:43]
	v_mul_f64 v[12:13], v[16:17], v[40:41]
	v_mov_b32_e32 v20, v15
	v_mov_b32_e32 v19, v14
	s_waitcnt vmcnt(0) lgkmcnt(0)
	v_mul_f64 v[14:15], v[23:24], v[38:39]
	v_mul_f64 v[16:17], v[23:24], v[36:37]
	global_store_dwordx4 v[8:9], v[0:3], off
	v_add_co_u32_e32 v8, vcc, s3, v8
	v_mul_f64 v[0:1], v[4:5], s[0:1]
	v_mul_f64 v[2:3], v[6:7], s[0:1]
	v_fma_f64 v[4:5], v[19:20], v[40:41], v[10:11]
	v_fma_f64 v[6:7], v[19:20], v[42:43], -v[12:13]
	v_fma_f64 v[10:11], v[21:22], v[36:37], v[14:15]
	v_fma_f64 v[12:13], v[21:22], v[38:39], -v[16:17]
	v_addc_co_u32_e32 v9, vcc, v9, v18, vcc
	v_mov_b32_e32 v14, s2
	global_store_dwordx4 v[8:9], v[0:3], off
	v_add_co_u32_e32 v8, vcc, s3, v8
	v_mul_f64 v[0:1], v[4:5], s[0:1]
	v_mul_f64 v[2:3], v[6:7], s[0:1]
	;; [unrolled: 1-line block ×4, first 2 shown]
	v_addc_co_u32_e32 v9, vcc, v9, v14, vcc
	global_store_dwordx4 v[8:9], v[0:3], off
	s_nop 0
	v_mov_b32_e32 v1, s2
	v_add_co_u32_e32 v0, vcc, s3, v8
	v_addc_co_u32_e32 v1, vcc, v9, v1, vcc
	global_store_dwordx4 v[0:1], v[4:7], off
.LBB0_2:
	s_endpgm
	.section	.rodata,"a",@progbits
	.p2align	6, 0x0
	.amdhsa_kernel bluestein_single_fwd_len3840_dim1_dp_op_CI_CI
		.amdhsa_group_segment_fixed_size 61440
		.amdhsa_private_segment_fixed_size 2224
		.amdhsa_kernarg_size 104
		.amdhsa_user_sgpr_count 6
		.amdhsa_user_sgpr_private_segment_buffer 1
		.amdhsa_user_sgpr_dispatch_ptr 0
		.amdhsa_user_sgpr_queue_ptr 0
		.amdhsa_user_sgpr_kernarg_segment_ptr 1
		.amdhsa_user_sgpr_dispatch_id 0
		.amdhsa_user_sgpr_flat_scratch_init 0
		.amdhsa_user_sgpr_private_segment_size 0
		.amdhsa_uses_dynamic_stack 0
		.amdhsa_system_sgpr_private_segment_wavefront_offset 1
		.amdhsa_system_sgpr_workgroup_id_x 1
		.amdhsa_system_sgpr_workgroup_id_y 0
		.amdhsa_system_sgpr_workgroup_id_z 0
		.amdhsa_system_sgpr_workgroup_info 0
		.amdhsa_system_vgpr_workitem_id 0
		.amdhsa_next_free_vgpr 256
		.amdhsa_next_free_sgpr 40
		.amdhsa_reserve_vcc 1
		.amdhsa_reserve_flat_scratch 0
		.amdhsa_float_round_mode_32 0
		.amdhsa_float_round_mode_16_64 0
		.amdhsa_float_denorm_mode_32 3
		.amdhsa_float_denorm_mode_16_64 3
		.amdhsa_dx10_clamp 1
		.amdhsa_ieee_mode 1
		.amdhsa_fp16_overflow 0
		.amdhsa_exception_fp_ieee_invalid_op 0
		.amdhsa_exception_fp_denorm_src 0
		.amdhsa_exception_fp_ieee_div_zero 0
		.amdhsa_exception_fp_ieee_overflow 0
		.amdhsa_exception_fp_ieee_underflow 0
		.amdhsa_exception_fp_ieee_inexact 0
		.amdhsa_exception_int_div_zero 0
	.end_amdhsa_kernel
	.text
.Lfunc_end0:
	.size	bluestein_single_fwd_len3840_dim1_dp_op_CI_CI, .Lfunc_end0-bluestein_single_fwd_len3840_dim1_dp_op_CI_CI
                                        ; -- End function
	.section	.AMDGPU.csdata,"",@progbits
; Kernel info:
; codeLenInByte = 54204
; NumSgprs: 44
; NumVgprs: 256
; ScratchSize: 2224
; MemoryBound: 0
; FloatMode: 240
; IeeeMode: 1
; LDSByteSize: 61440 bytes/workgroup (compile time only)
; SGPRBlocks: 5
; VGPRBlocks: 63
; NumSGPRsForWavesPerEU: 44
; NumVGPRsForWavesPerEU: 256
; Occupancy: 1
; WaveLimiterHint : 1
; COMPUTE_PGM_RSRC2:SCRATCH_EN: 1
; COMPUTE_PGM_RSRC2:USER_SGPR: 6
; COMPUTE_PGM_RSRC2:TRAP_HANDLER: 0
; COMPUTE_PGM_RSRC2:TGID_X_EN: 1
; COMPUTE_PGM_RSRC2:TGID_Y_EN: 0
; COMPUTE_PGM_RSRC2:TGID_Z_EN: 0
; COMPUTE_PGM_RSRC2:TIDIG_COMP_CNT: 0
	.type	__hip_cuid_45fa6a34414f5113,@object ; @__hip_cuid_45fa6a34414f5113
	.section	.bss,"aw",@nobits
	.globl	__hip_cuid_45fa6a34414f5113
__hip_cuid_45fa6a34414f5113:
	.byte	0                               ; 0x0
	.size	__hip_cuid_45fa6a34414f5113, 1

	.ident	"AMD clang version 19.0.0git (https://github.com/RadeonOpenCompute/llvm-project roc-6.4.0 25133 c7fe45cf4b819c5991fe208aaa96edf142730f1d)"
	.section	".note.GNU-stack","",@progbits
	.addrsig
	.addrsig_sym __hip_cuid_45fa6a34414f5113
	.amdgpu_metadata
---
amdhsa.kernels:
  - .args:
      - .actual_access:  read_only
        .address_space:  global
        .offset:         0
        .size:           8
        .value_kind:     global_buffer
      - .actual_access:  read_only
        .address_space:  global
        .offset:         8
        .size:           8
        .value_kind:     global_buffer
      - .actual_access:  read_only
        .address_space:  global
        .offset:         16
        .size:           8
        .value_kind:     global_buffer
      - .actual_access:  read_only
        .address_space:  global
        .offset:         24
        .size:           8
        .value_kind:     global_buffer
      - .actual_access:  read_only
        .address_space:  global
        .offset:         32
        .size:           8
        .value_kind:     global_buffer
      - .offset:         40
        .size:           8
        .value_kind:     by_value
      - .address_space:  global
        .offset:         48
        .size:           8
        .value_kind:     global_buffer
      - .address_space:  global
        .offset:         56
        .size:           8
        .value_kind:     global_buffer
      - .address_space:  global
        .offset:         64
        .size:           8
        .value_kind:     global_buffer
      - .address_space:  global
        .offset:         72
        .size:           8
        .value_kind:     global_buffer
      - .offset:         80
        .size:           4
        .value_kind:     by_value
      - .address_space:  global
        .offset:         88
        .size:           8
        .value_kind:     global_buffer
      - .address_space:  global
        .offset:         96
        .size:           8
        .value_kind:     global_buffer
    .group_segment_fixed_size: 61440
    .kernarg_segment_align: 8
    .kernarg_segment_size: 104
    .language:       OpenCL C
    .language_version:
      - 2
      - 0
    .max_flat_workgroup_size: 128
    .name:           bluestein_single_fwd_len3840_dim1_dp_op_CI_CI
    .private_segment_fixed_size: 2224
    .sgpr_count:     44
    .sgpr_spill_count: 0
    .symbol:         bluestein_single_fwd_len3840_dim1_dp_op_CI_CI.kd
    .uniform_work_group_size: 1
    .uses_dynamic_stack: false
    .vgpr_count:     256
    .vgpr_spill_count: 555
    .wavefront_size: 64
amdhsa.target:   amdgcn-amd-amdhsa--gfx906
amdhsa.version:
  - 1
  - 2
...

	.end_amdgpu_metadata
